;; amdgpu-corpus repo=zjin-lcf/HeCBench kind=compiled arch=gfx90a opt=O3
	.text
	.amdgcn_target "amdgcn-amd-amdhsa--gfx90a"
	.amdhsa_code_object_version 6
	.protected	_Z6Match1PKfS0_PfPi     ; -- Begin function _Z6Match1PKfS0_PfPi
	.globl	_Z6Match1PKfS0_PfPi
	.p2align	8
	.type	_Z6Match1PKfS0_PfPi,@function
_Z6Match1PKfS0_PfPi:                    ; @_Z6Match1PKfS0_PfPi
; %bb.0:
	s_load_dwordx8 s[8:15], s[4:5], 0x0
	v_lshl_add_u32 v0, s6, 7, v0
	v_lshlrev_b32_e32 v2, 7, v0
	v_ashrrev_i32_e32 v3, 31, v2
	v_lshlrev_b64 v[2:3], 2, v[2:3]
	s_waitcnt lgkmcnt(0)
	v_mov_b32_e32 v4, s9
	v_add_co_u32_e32 v1, vcc, s8, v2
	v_addc_co_u32_e32 v4, vcc, v4, v3, vcc
	s_mov_b32 s2, 0
	v_mov_b32_e32 v2, -1
	v_mov_b32_e32 v3, 0
.LBB0_1:                                ; =>This Loop Header: Depth=1
                                        ;     Child Loop BB0_2 Depth 2
	s_mov_b64 s[0:1], 0
	v_mov_b32_e32 v5, 0
.LBB0_2:                                ;   Parent Loop BB0_1 Depth=1
                                        ; =>  This Inner Loop Header: Depth=2
	v_mov_b32_e32 v6, s1
	v_add_co_u32_e32 v14, vcc, s0, v1
	v_addc_co_u32_e32 v15, vcc, v4, v6, vcc
	global_load_dwordx4 v[6:9], v[14:15], off
	global_load_dwordx4 v[10:13], v[14:15], off offset:16
	s_add_u32 s4, s10, s0
	s_addc_u32 s5, s11, s1
	s_load_dwordx8 s[16:23], s[4:5], 0x0
	s_add_u32 s0, s0, 32
	s_addc_u32 s1, s1, 0
	s_cmpk_eq_i32 s0, 0x200
	s_waitcnt vmcnt(1) lgkmcnt(0)
	v_fmac_f32_e32 v5, s16, v6
	v_fmac_f32_e32 v5, s17, v7
	;; [unrolled: 1-line block ×4, first 2 shown]
	s_waitcnt vmcnt(0)
	v_fmac_f32_e32 v5, s20, v10
	v_fmac_f32_e32 v5, s21, v11
	;; [unrolled: 1-line block ×4, first 2 shown]
	s_cbranch_scc0 .LBB0_2
; %bb.3:                                ;   in Loop: Header=BB0_1 Depth=1
	v_cmp_gt_f32_e32 vcc, v5, v3
	v_cndmask_b32_e32 v3, v3, v5, vcc
	v_mov_b32_e32 v5, s2
	s_add_i32 s2, s2, 1
	s_add_u32 s10, s10, 0x200
	s_addc_u32 s11, s11, 0
	s_cmpk_eq_i32 s2, 0x4000
	v_cndmask_b32_e32 v2, v2, v5, vcc
	s_cbranch_scc0 .LBB0_1
; %bb.4:
	v_ashrrev_i32_e32 v1, 31, v0
	v_lshlrev_b64 v[0:1], 2, v[0:1]
	v_mov_b32_e32 v5, s13
	v_add_co_u32_e32 v4, vcc, s12, v0
	v_addc_co_u32_e32 v5, vcc, v5, v1, vcc
	global_store_dword v[4:5], v3, off
	v_mov_b32_e32 v3, s15
	v_add_co_u32_e32 v0, vcc, s14, v0
	v_addc_co_u32_e32 v1, vcc, v3, v1, vcc
	global_store_dword v[0:1], v2, off
	s_endpgm
	.section	.rodata,"a",@progbits
	.p2align	6, 0x0
	.amdhsa_kernel _Z6Match1PKfS0_PfPi
		.amdhsa_group_segment_fixed_size 0
		.amdhsa_private_segment_fixed_size 0
		.amdhsa_kernarg_size 32
		.amdhsa_user_sgpr_count 6
		.amdhsa_user_sgpr_private_segment_buffer 1
		.amdhsa_user_sgpr_dispatch_ptr 0
		.amdhsa_user_sgpr_queue_ptr 0
		.amdhsa_user_sgpr_kernarg_segment_ptr 1
		.amdhsa_user_sgpr_dispatch_id 0
		.amdhsa_user_sgpr_flat_scratch_init 0
		.amdhsa_user_sgpr_kernarg_preload_length 0
		.amdhsa_user_sgpr_kernarg_preload_offset 0
		.amdhsa_user_sgpr_private_segment_size 0
		.amdhsa_uses_dynamic_stack 0
		.amdhsa_system_sgpr_private_segment_wavefront_offset 0
		.amdhsa_system_sgpr_workgroup_id_x 1
		.amdhsa_system_sgpr_workgroup_id_y 0
		.amdhsa_system_sgpr_workgroup_id_z 0
		.amdhsa_system_sgpr_workgroup_info 0
		.amdhsa_system_vgpr_workitem_id 0
		.amdhsa_next_free_vgpr 16
		.amdhsa_next_free_sgpr 24
		.amdhsa_accum_offset 16
		.amdhsa_reserve_vcc 1
		.amdhsa_reserve_flat_scratch 0
		.amdhsa_float_round_mode_32 0
		.amdhsa_float_round_mode_16_64 0
		.amdhsa_float_denorm_mode_32 3
		.amdhsa_float_denorm_mode_16_64 3
		.amdhsa_dx10_clamp 1
		.amdhsa_ieee_mode 1
		.amdhsa_fp16_overflow 0
		.amdhsa_tg_split 0
		.amdhsa_exception_fp_ieee_invalid_op 0
		.amdhsa_exception_fp_denorm_src 0
		.amdhsa_exception_fp_ieee_div_zero 0
		.amdhsa_exception_fp_ieee_overflow 0
		.amdhsa_exception_fp_ieee_underflow 0
		.amdhsa_exception_fp_ieee_inexact 0
		.amdhsa_exception_int_div_zero 0
	.end_amdhsa_kernel
	.text
.Lfunc_end0:
	.size	_Z6Match1PKfS0_PfPi, .Lfunc_end0-_Z6Match1PKfS0_PfPi
                                        ; -- End function
	.section	.AMDGPU.csdata,"",@progbits
; Kernel info:
; codeLenInByte = 264
; NumSgprs: 28
; NumVgprs: 16
; NumAgprs: 0
; TotalNumVgprs: 16
; ScratchSize: 0
; MemoryBound: 0
; FloatMode: 240
; IeeeMode: 1
; LDSByteSize: 0 bytes/workgroup (compile time only)
; SGPRBlocks: 3
; VGPRBlocks: 1
; NumSGPRsForWavesPerEU: 28
; NumVGPRsForWavesPerEU: 16
; AccumOffset: 16
; Occupancy: 8
; WaveLimiterHint : 0
; COMPUTE_PGM_RSRC2:SCRATCH_EN: 0
; COMPUTE_PGM_RSRC2:USER_SGPR: 6
; COMPUTE_PGM_RSRC2:TRAP_HANDLER: 0
; COMPUTE_PGM_RSRC2:TGID_X_EN: 1
; COMPUTE_PGM_RSRC2:TGID_Y_EN: 0
; COMPUTE_PGM_RSRC2:TGID_Z_EN: 0
; COMPUTE_PGM_RSRC2:TIDIG_COMP_CNT: 0
; COMPUTE_PGM_RSRC3_GFX90A:ACCUM_OFFSET: 3
; COMPUTE_PGM_RSRC3_GFX90A:TG_SPLIT: 0
	.text
	.protected	_Z6Match2PKfS0_PfPi     ; -- Begin function _Z6Match2PKfS0_PfPi
	.globl	_Z6Match2PKfS0_PfPi
	.p2align	8
	.type	_Z6Match2PKfS0_PfPi,@function
_Z6Match2PKfS0_PfPi:                    ; @_Z6Match2PKfS0_PfPi
; %bb.0:
	v_and_b32_e32 v2, 0x3ff, v0
	s_movk_i32 s2, 0x80
	v_bfe_u32 v3, v0, 10, 10
	v_cmp_gt_u32_e32 vcc, s2, v2
	s_movk_i32 s2, 0x7f
	v_cmp_lt_u32_e64 s[0:1], 15, v3
	v_cmp_lt_u32_e64 s[2:3], s2, v2
	s_or_b64 s[0:1], s[0:1], s[2:3]
	v_lshlrev_b32_e32 v4, 7, v3
                                        ; implicit-def: $vgpr5
	s_and_saveexec_b64 s[2:3], s[0:1]
	s_xor_b64 s[0:1], exec, s[2:3]
; %bb.1:
	v_lshlrev_b32_e32 v4, 7, v3
	v_or_b32_e32 v5, v2, v4
; %bb.2:
	s_or_saveexec_b64 s[2:3], s[0:1]
	s_load_dwordx4 s[20:23], s[4:5], 0x8
	s_load_dwordx2 s[18:19], s[4:5], 0x18
	s_lshl_b32 s26, s6, 4
	s_xor_b64 exec, exec, s[2:3]
	s_cbranch_execz .LBB1_12
; %bb.3:
	s_load_dwordx2 s[6:7], s[4:5], 0x0
	v_or_b32_e32 v0, s26, v3
	v_lshlrev_b32_e32 v0, 7, v0
	v_or_b32_e32 v6, v0, v2
	v_ashrrev_i32_e32 v7, 31, v6
	v_lshlrev_b64 v[6:7], 2, v[6:7]
	s_waitcnt lgkmcnt(0)
	v_mov_b32_e32 v1, s7
	v_add_co_u32_e64 v6, s[0:1], s6, v6
	v_addc_co_u32_e64 v7, s[0:1], v1, v7, s[0:1]
	global_load_dword v1, v[6:7], off
	v_or_b32_e32 v5, v4, v2
	s_movk_i32 s0, 0x70
	v_lshlrev_b32_e32 v6, 2, v5
	v_cmp_gt_u32_e64 s[0:1], s0, v2
	s_waitcnt vmcnt(0)
	ds_write_b32 v6, v1
	s_and_saveexec_b64 s[4:5], s[0:1]
	s_cbranch_execz .LBB1_11
; %bb.4:
	v_ashrrev_i32_e32 v1, 31, v0
	v_add_co_u32_e64 v0, s[0:1], v0, v2
	v_addc_co_u32_e64 v1, s[0:1], 0, v1, s[0:1]
	v_lshlrev_b64 v[0:1], 2, v[0:1]
	v_mov_b32_e32 v7, s7
	v_add_co_u32_e64 v0, s[0:1], s6, v0
	v_addc_co_u32_e64 v1, s[0:1], v7, v1, s[0:1]
	global_load_dword v7, v[0:1], off offset:64
	s_movk_i32 s0, 0x60
	v_cmp_gt_u32_e64 s[0:1], s0, v2
	s_waitcnt vmcnt(0)
	ds_write_b32 v6, v7 offset:64
	s_and_b64 exec, exec, s[0:1]
	s_cbranch_execz .LBB1_11
; %bb.5:
	global_load_dword v7, v[0:1], off offset:128
	s_movk_i32 s0, 0x50
	v_cmp_gt_u32_e64 s[0:1], s0, v2
	s_waitcnt vmcnt(0)
	ds_write_b32 v6, v7 offset:128
	s_and_b64 exec, exec, s[0:1]
	s_cbranch_execz .LBB1_11
; %bb.6:
	global_load_dword v7, v[0:1], off offset:192
	v_cmp_gt_u32_e64 s[0:1], 64, v2
	s_waitcnt vmcnt(0)
	ds_write_b32 v6, v7 offset:192
	s_and_b64 exec, exec, s[0:1]
	s_cbranch_execz .LBB1_11
; %bb.7:
	global_load_dword v7, v[0:1], off offset:256
	v_or_b32_e32 v8, 64, v2
	s_movk_i32 s0, 0x70
	v_cmp_gt_u32_e64 s[0:1], s0, v8
	s_waitcnt vmcnt(0)
	ds_write_b32 v6, v7 offset:256
	s_and_b64 exec, exec, s[0:1]
	s_cbranch_execz .LBB1_11
; %bb.8:
	global_load_dword v7, v[0:1], off offset:320
	v_cmp_gt_u32_e64 s[0:1], 32, v2
	s_waitcnt vmcnt(0)
	ds_write_b32 v6, v7 offset:320
	s_and_b64 exec, exec, s[0:1]
	s_cbranch_execz .LBB1_11
; %bb.9:
	global_load_dword v7, v[0:1], off offset:384
	v_or_b32_e32 v8, 0x60, v2
	s_movk_i32 s0, 0x70
	v_cmp_gt_u32_e64 s[0:1], s0, v8
	s_waitcnt vmcnt(0)
	ds_write_b32 v6, v7 offset:384
	s_and_b64 exec, exec, s[0:1]
	s_cbranch_execz .LBB1_11
; %bb.10:
	global_load_dword v0, v[0:1], off offset:448
	s_waitcnt vmcnt(0)
	ds_write_b32 v6, v0 offset:448
.LBB1_11:
	s_or_b64 exec, exec, s[4:5]
.LBB1_12:
	s_or_b64 exec, exec, s[2:3]
	v_lshl_add_u32 v0, v3, 4, v2
	v_mov_b32_e32 v1, 0x4000
	v_lshl_add_u32 v6, v0, 2, v1
	v_lshl_or_b32 v7, v2, 2, v1
	s_movk_i32 s14, 0x70
	v_or_b32_e32 v1, 64, v2
	v_mov_b32_e32 v0, 0x2000
	s_movk_i32 s4, 0x60
	s_movk_i32 s6, 0x50
	v_cmp_gt_u32_e64 s[10:11], s14, v1
	v_or_b32_e32 v1, 0x60, v2
	s_mov_b32 s27, 0
	v_cmp_eq_u32_e64 s[0:1], 0, v3
	v_lshl_add_u32 v8, v5, 2, v0
	v_cmp_gt_u32_e64 s[2:3], s14, v2
	v_cmp_gt_u32_e64 s[4:5], s4, v2
	;; [unrolled: 1-line block ×6, first 2 shown]
	v_mov_b32_e32 v1, 0
	v_lshlrev_b32_e32 v9, 9, v2
	v_lshl_add_u32 v10, v4, 2, v0
	v_mov_b32_e32 v11, -1
	v_mov_b32_e32 v12, 0
	s_waitcnt lgkmcnt(0)
	s_barrier
	s_and_saveexec_b64 s[24:25], vcc
	s_cbranch_execz .LBB1_21
.LBB1_13:
	v_add_lshl_u32 v4, s27, v3, 7
	v_or_b32_e32 v0, v2, v4
	v_lshlrev_b64 v[14:15], 2, v[0:1]
	v_mov_b32_e32 v0, s21
	v_add_co_u32_e64 v14, s[16:17], s20, v14
	v_addc_co_u32_e64 v15, s[16:17], v0, v15, s[16:17]
	global_load_dword v0, v[14:15], off
	s_waitcnt vmcnt(0)
	ds_write_b32 v8, v0
	s_and_b64 exec, exec, s[2:3]
	s_cbranch_execz .LBB1_21
; %bb.14:
	v_add_co_u32_e64 v4, s[16:17], v2, v4
	v_addc_co_u32_e64 v5, s[16:17], 0, 0, s[16:17]
	v_lshlrev_b64 v[4:5], 2, v[4:5]
	v_mov_b32_e32 v0, s21
	v_add_co_u32_e64 v4, s[16:17], s20, v4
	v_addc_co_u32_e64 v5, s[16:17], v0, v5, s[16:17]
	global_load_dword v0, v[4:5], off offset:64
	s_waitcnt vmcnt(0)
	ds_write_b32 v8, v0 offset:64
	s_and_saveexec_b64 s[16:17], s[4:5]
	s_xor_b64 s[16:17], exec, s[16:17]
	s_cbranch_execz .LBB1_21
; %bb.15:
	global_load_dword v0, v[4:5], off offset:128
	s_waitcnt vmcnt(0)
	ds_write_b32 v8, v0 offset:128
	s_and_saveexec_b64 s[16:17], s[6:7]
	s_xor_b64 s[16:17], exec, s[16:17]
	s_cbranch_execz .LBB1_21
; %bb.16:
	;; [unrolled: 7-line block ×6, first 2 shown]
	global_load_dword v0, v[4:5], off offset:448
	s_waitcnt vmcnt(0)
	ds_write_b32 v8, v0 offset:448
.LBB1_21:                               ; =>This Loop Header: Depth=1
                                        ;     Child Loop BB1_22 Depth 2
	s_or_b64 exec, exec, s[24:25]
	s_mov_b32 s16, 0
	v_mov_b32_e32 v0, 0
	s_waitcnt lgkmcnt(0)
	s_barrier
.LBB1_22:                               ;   Parent Loop BB1_21 Depth=1
                                        ; =>  This Inner Loop Header: Depth=2
	v_add_u32_e32 v4, s16, v9
	v_add_u32_e32 v5, s16, v10
	ds_read_b128 v[14:17], v4
	ds_read_b128 v[18:21], v4 offset:16
	ds_read_b128 v[22:25], v4 offset:32
	;; [unrolled: 1-line block ×3, first 2 shown]
	ds_read_b128 v[30:33], v5
	ds_read_b128 v[34:37], v5 offset:16
	ds_read_b128 v[38:41], v5 offset:32
	;; [unrolled: 1-line block ×3, first 2 shown]
	s_add_i32 s16, s16, 64
	s_waitcnt lgkmcnt(3)
	v_fmac_f32_e32 v0, v14, v30
	v_fmac_f32_e32 v0, v15, v31
	v_fmac_f32_e32 v0, v16, v32
	v_fmac_f32_e32 v0, v17, v33
	s_waitcnt lgkmcnt(2)
	v_fmac_f32_e32 v0, v18, v34
	v_fmac_f32_e32 v0, v19, v35
	v_fmac_f32_e32 v0, v20, v36
	v_fmac_f32_e32 v0, v21, v37
	;; [unrolled: 5-line block ×3, first 2 shown]
	s_waitcnt lgkmcnt(0)
	v_fmac_f32_e32 v0, v26, v42
	v_fmac_f32_e32 v0, v27, v43
	;; [unrolled: 1-line block ×3, first 2 shown]
	s_cmpk_eq_i32 s16, 0x200
	v_fmac_f32_e32 v0, v29, v45
	s_cbranch_scc0 .LBB1_22
; %bb.23:                               ;   in Loop: Header=BB1_21 Depth=1
	ds_write_b32 v6, v0
	s_waitcnt lgkmcnt(0)
	s_barrier
	s_and_saveexec_b64 s[24:25], s[0:1]
	s_cbranch_execz .LBB1_25
; %bb.24:                               ;   in Loop: Header=BB1_21 Depth=1
	ds_read2_b32 v[4:5], v7 offset1:16
	ds_read2_b32 v[14:15], v7 offset0:32 offset1:48
	v_mov_b32_e32 v0, s27
	s_or_b32 s28, s27, 1
	s_waitcnt lgkmcnt(1)
	v_cmp_gt_f32_e64 s[16:17], v4, v12
	v_cndmask_b32_e64 v4, v12, v4, s[16:17]
	v_cndmask_b32_e64 v0, v11, v0, s[16:17]
	v_cmp_gt_f32_e64 s[16:17], v5, v4
	v_cndmask_b32_e64 v4, v4, v5, s[16:17]
	v_mov_b32_e32 v5, s28
	v_cndmask_b32_e64 v0, v0, v5, s[16:17]
	s_or_b32 s28, s27, 2
	s_waitcnt lgkmcnt(0)
	v_cmp_gt_f32_e64 s[16:17], v14, v4
	v_cndmask_b32_e64 v11, v4, v14, s[16:17]
	v_mov_b32_e32 v4, s28
	v_cndmask_b32_e64 v0, v0, v4, s[16:17]
	ds_read2_b32 v[4:5], v7 offset0:64 offset1:80
	s_or_b32 s28, s27, 3
	v_cmp_gt_f32_e64 s[16:17], v15, v11
	v_mov_b32_e32 v12, s28
	v_cndmask_b32_e64 v11, v11, v15, s[16:17]
	v_cndmask_b32_e64 v0, v0, v12, s[16:17]
	ds_read2_b32 v[12:13], v7 offset0:96 offset1:112
	s_or_b32 s28, s27, 4
	s_waitcnt lgkmcnt(1)
	v_cmp_gt_f32_e64 s[16:17], v4, v11
	v_cndmask_b32_e64 v4, v11, v4, s[16:17]
	v_mov_b32_e32 v11, s28
	v_cndmask_b32_e64 v0, v0, v11, s[16:17]
	s_or_b32 s28, s27, 5
	v_cmp_gt_f32_e64 s[16:17], v5, v4
	v_cndmask_b32_e64 v4, v4, v5, s[16:17]
	v_mov_b32_e32 v5, s28
	v_cndmask_b32_e64 v0, v0, v5, s[16:17]
	s_or_b32 s28, s27, 6
	s_waitcnt lgkmcnt(0)
	v_cmp_gt_f32_e64 s[16:17], v12, v4
	v_cndmask_b32_e64 v11, v4, v12, s[16:17]
	v_mov_b32_e32 v4, s28
	v_cndmask_b32_e64 v0, v0, v4, s[16:17]
	ds_read2_b32 v[4:5], v7 offset0:128 offset1:144
	s_or_b32 s28, s27, 7
	v_cmp_gt_f32_e64 s[16:17], v13, v11
	v_mov_b32_e32 v12, s28
	v_cndmask_b32_e64 v11, v11, v13, s[16:17]
	v_cndmask_b32_e64 v0, v0, v12, s[16:17]
	ds_read2_b32 v[12:13], v7 offset0:160 offset1:176
	s_or_b32 s28, s27, 8
	s_waitcnt lgkmcnt(1)
	v_cmp_gt_f32_e64 s[16:17], v4, v11
	v_cndmask_b32_e64 v4, v11, v4, s[16:17]
	v_mov_b32_e32 v11, s28
	v_cndmask_b32_e64 v0, v0, v11, s[16:17]
	s_or_b32 s28, s27, 9
	;; [unrolled: 24-line block ×3, first 2 shown]
	v_cmp_gt_f32_e64 s[16:17], v5, v4
	v_cndmask_b32_e64 v4, v4, v5, s[16:17]
	v_mov_b32_e32 v5, s28
	v_cndmask_b32_e64 v0, v0, v5, s[16:17]
	s_or_b32 s28, s27, 14
	s_waitcnt lgkmcnt(0)
	v_cmp_gt_f32_e64 s[16:17], v12, v4
	v_cndmask_b32_e64 v4, v4, v12, s[16:17]
	v_mov_b32_e32 v5, s28
	v_cndmask_b32_e64 v0, v0, v5, s[16:17]
	s_or_b32 s28, s27, 15
	v_cmp_gt_f32_e64 s[16:17], v13, v4
	v_cndmask_b32_e64 v12, v4, v13, s[16:17]
	v_mov_b32_e32 v4, s28
	v_cndmask_b32_e64 v11, v0, v4, s[16:17]
.LBB1_25:                               ;   in Loop: Header=BB1_21 Depth=1
	s_or_b64 exec, exec, s[24:25]
	s_add_i32 s16, s27, 16
	s_cmpk_gt_u32 s27, 0x3fef
	s_barrier
	s_cbranch_scc1 .LBB1_27
; %bb.26:                               ;   in Loop: Header=BB1_21 Depth=1
	s_mov_b32 s27, s16
	s_and_saveexec_b64 s[24:25], vcc
	s_cbranch_execnz .LBB1_13
	s_branch .LBB1_21
.LBB1_27:
	s_and_saveexec_b64 s[2:3], s[0:1]
	s_cbranch_execz .LBB1_29
; %bb.28:
	v_add_u32_e32 v0, s26, v2
	v_ashrrev_i32_e32 v1, 31, v0
	v_lshlrev_b64 v[0:1], 2, v[0:1]
	v_mov_b32_e32 v3, s19
	v_add_co_u32_e32 v2, vcc, s18, v0
	v_addc_co_u32_e32 v3, vcc, v3, v1, vcc
	v_mov_b32_e32 v4, s23
	v_add_co_u32_e32 v0, vcc, s22, v0
	v_addc_co_u32_e32 v1, vcc, v4, v1, vcc
	global_store_dword v[0:1], v12, off
	global_store_dword v[2:3], v11, off
.LBB1_29:
	s_endpgm
	.section	.rodata,"a",@progbits
	.p2align	6, 0x0
	.amdhsa_kernel _Z6Match2PKfS0_PfPi
		.amdhsa_group_segment_fixed_size 17408
		.amdhsa_private_segment_fixed_size 0
		.amdhsa_kernarg_size 32
		.amdhsa_user_sgpr_count 6
		.amdhsa_user_sgpr_private_segment_buffer 1
		.amdhsa_user_sgpr_dispatch_ptr 0
		.amdhsa_user_sgpr_queue_ptr 0
		.amdhsa_user_sgpr_kernarg_segment_ptr 1
		.amdhsa_user_sgpr_dispatch_id 0
		.amdhsa_user_sgpr_flat_scratch_init 0
		.amdhsa_user_sgpr_kernarg_preload_length 0
		.amdhsa_user_sgpr_kernarg_preload_offset 0
		.amdhsa_user_sgpr_private_segment_size 0
		.amdhsa_uses_dynamic_stack 0
		.amdhsa_system_sgpr_private_segment_wavefront_offset 0
		.amdhsa_system_sgpr_workgroup_id_x 1
		.amdhsa_system_sgpr_workgroup_id_y 0
		.amdhsa_system_sgpr_workgroup_id_z 0
		.amdhsa_system_sgpr_workgroup_info 0
		.amdhsa_system_vgpr_workitem_id 1
		.amdhsa_next_free_vgpr 46
		.amdhsa_next_free_sgpr 29
		.amdhsa_accum_offset 48
		.amdhsa_reserve_vcc 1
		.amdhsa_reserve_flat_scratch 0
		.amdhsa_float_round_mode_32 0
		.amdhsa_float_round_mode_16_64 0
		.amdhsa_float_denorm_mode_32 3
		.amdhsa_float_denorm_mode_16_64 3
		.amdhsa_dx10_clamp 1
		.amdhsa_ieee_mode 1
		.amdhsa_fp16_overflow 0
		.amdhsa_tg_split 0
		.amdhsa_exception_fp_ieee_invalid_op 0
		.amdhsa_exception_fp_denorm_src 0
		.amdhsa_exception_fp_ieee_div_zero 0
		.amdhsa_exception_fp_ieee_overflow 0
		.amdhsa_exception_fp_ieee_underflow 0
		.amdhsa_exception_fp_ieee_inexact 0
		.amdhsa_exception_int_div_zero 0
	.end_amdhsa_kernel
	.text
.Lfunc_end1:
	.size	_Z6Match2PKfS0_PfPi, .Lfunc_end1-_Z6Match2PKfS0_PfPi
                                        ; -- End function
	.section	.AMDGPU.csdata,"",@progbits
; Kernel info:
; codeLenInByte = 1944
; NumSgprs: 33
; NumVgprs: 46
; NumAgprs: 0
; TotalNumVgprs: 46
; ScratchSize: 0
; MemoryBound: 0
; FloatMode: 240
; IeeeMode: 1
; LDSByteSize: 17408 bytes/workgroup (compile time only)
; SGPRBlocks: 4
; VGPRBlocks: 5
; NumSGPRsForWavesPerEU: 33
; NumVGPRsForWavesPerEU: 46
; AccumOffset: 48
; Occupancy: 8
; WaveLimiterHint : 0
; COMPUTE_PGM_RSRC2:SCRATCH_EN: 0
; COMPUTE_PGM_RSRC2:USER_SGPR: 6
; COMPUTE_PGM_RSRC2:TRAP_HANDLER: 0
; COMPUTE_PGM_RSRC2:TGID_X_EN: 1
; COMPUTE_PGM_RSRC2:TGID_Y_EN: 0
; COMPUTE_PGM_RSRC2:TGID_Z_EN: 0
; COMPUTE_PGM_RSRC2:TIDIG_COMP_CNT: 1
; COMPUTE_PGM_RSRC3_GFX90A:ACCUM_OFFSET: 11
; COMPUTE_PGM_RSRC3_GFX90A:TG_SPLIT: 0
	.text
	.protected	_Z6Match3PKfS0_PfPi     ; -- Begin function _Z6Match3PKfS0_PfPi
	.globl	_Z6Match3PKfS0_PfPi
	.p2align	8
	.type	_Z6Match3PKfS0_PfPi,@function
_Z6Match3PKfS0_PfPi:                    ; @_Z6Match3PKfS0_PfPi
; %bb.0:
	s_load_dwordx4 s[20:23], s[4:5], 0x8
	s_load_dwordx2 s[18:19], s[4:5], 0x18
	v_and_b32_e32 v2, 0x3ff, v0
	v_bfe_u32 v3, v0, 10, 10
	s_movk_i32 s2, 0x80
	v_cmp_gt_u32_e64 s[0:1], 16, v3
	v_cmp_gt_u32_e32 vcc, s2, v2
	v_lshl_add_u32 v4, v3, 4, v2
	s_lshl_b32 s26, s6, 4
	s_and_b64 s[0:1], s[0:1], vcc
	s_and_saveexec_b64 s[2:3], s[0:1]
	s_cbranch_execz .LBB2_9
; %bb.1:
	s_load_dwordx2 s[4:5], s[4:5], 0x0
	v_or_b32_e32 v0, s26, v3
	v_lshlrev_b32_e32 v0, 7, v0
	v_or_b32_e32 v6, v0, v2
	v_ashrrev_i32_e32 v7, 31, v6
	v_lshlrev_b64 v[6:7], 2, v[6:7]
	s_waitcnt lgkmcnt(0)
	v_mov_b32_e32 v1, s5
	v_add_co_u32_e64 v6, s[0:1], s4, v6
	v_addc_co_u32_e64 v7, s[0:1], v1, v7, s[0:1]
	global_load_dword v1, v[6:7], off
	v_mul_u32_u24_e32 v5, 0x71, v3
	s_movk_i32 s0, 0x70
	v_add_lshl_u32 v5, v4, v5, 2
	v_cmp_gt_u32_e64 s[0:1], s0, v2
	s_waitcnt vmcnt(0)
	ds_write_b32 v5, v1
	s_and_b64 exec, exec, s[0:1]
	s_cbranch_execz .LBB2_9
; %bb.2:
	v_ashrrev_i32_e32 v1, 31, v0
	v_add_co_u32_e64 v0, s[0:1], v0, v2
	v_addc_co_u32_e64 v1, s[0:1], 0, v1, s[0:1]
	v_lshlrev_b64 v[0:1], 2, v[0:1]
	v_mov_b32_e32 v6, s5
	v_add_co_u32_e64 v0, s[0:1], s4, v0
	v_addc_co_u32_e64 v1, s[0:1], v6, v1, s[0:1]
	global_load_dword v6, v[0:1], off offset:64
	s_movk_i32 s0, 0x60
	v_cmp_gt_u32_e64 s[0:1], s0, v2
	s_waitcnt vmcnt(0)
	ds_write_b32 v5, v6 offset:64
	s_and_b64 exec, exec, s[0:1]
	s_cbranch_execz .LBB2_9
; %bb.3:
	global_load_dword v6, v[0:1], off offset:128
	s_movk_i32 s0, 0x50
	v_cmp_gt_u32_e64 s[0:1], s0, v2
	s_waitcnt vmcnt(0)
	ds_write_b32 v5, v6 offset:128
	s_and_b64 exec, exec, s[0:1]
	s_cbranch_execz .LBB2_9
; %bb.4:
	global_load_dword v6, v[0:1], off offset:192
	v_cmp_gt_u32_e64 s[0:1], 64, v2
	s_waitcnt vmcnt(0)
	ds_write_b32 v5, v6 offset:192
	s_and_b64 exec, exec, s[0:1]
	s_cbranch_execz .LBB2_9
; %bb.5:
	global_load_dword v6, v[0:1], off offset:256
	v_or_b32_e32 v7, 64, v2
	s_movk_i32 s0, 0x70
	v_cmp_gt_u32_e64 s[0:1], s0, v7
	s_waitcnt vmcnt(0)
	ds_write_b32 v5, v6 offset:256
	s_and_b64 exec, exec, s[0:1]
	s_cbranch_execz .LBB2_9
; %bb.6:
	global_load_dword v6, v[0:1], off offset:320
	v_cmp_gt_u32_e64 s[0:1], 32, v2
	s_waitcnt vmcnt(0)
	ds_write_b32 v5, v6 offset:320
	s_and_b64 exec, exec, s[0:1]
	s_cbranch_execz .LBB2_9
; %bb.7:
	global_load_dword v6, v[0:1], off offset:384
	v_or_b32_e32 v7, 0x60, v2
	s_movk_i32 s0, 0x70
	v_cmp_gt_u32_e64 s[0:1], s0, v7
	s_waitcnt vmcnt(0)
	ds_write_b32 v5, v6 offset:384
	s_and_b64 exec, exec, s[0:1]
	s_cbranch_execz .LBB2_9
; %bb.8:
	global_load_dword v0, v[0:1], off offset:448
	s_waitcnt vmcnt(0)
	ds_write_b32 v5, v0 offset:448
.LBB2_9:
	s_or_b64 exec, exec, s[2:3]
	v_mov_b32_e32 v1, 0x4040
	v_lshl_add_u32 v6, v4, 2, v1
	v_lshlrev_b32_e32 v1, 2, v2
	v_lshlrev_b32_e32 v4, 9, v3
	v_add_u32_e32 v7, 0x4040, v1
	v_or_b32_e32 v1, v4, v1
	v_add_u32_e32 v8, 0x2040, v1
	s_movk_i32 s14, 0x70
	v_or_b32_e32 v1, 64, v2
	v_mul_u32_u24_e32 v0, 0x81, v2
	s_movk_i32 s4, 0x60
	s_movk_i32 s6, 0x50
	v_cmp_gt_u32_e64 s[10:11], s14, v1
	v_or_b32_e32 v1, 0x60, v2
	s_mov_b32 s27, 0
	v_cmp_eq_u32_e64 s[0:1], 0, v3
	v_cmp_gt_u32_e64 s[2:3], s14, v2
	v_cmp_gt_u32_e64 s[4:5], s4, v2
	;; [unrolled: 1-line block ×6, first 2 shown]
	v_mov_b32_e32 v1, 0
	v_lshlrev_b32_e32 v9, 2, v0
	v_add_u32_e32 v10, 0x2040, v4
	v_mov_b32_e32 v11, -1
	v_mov_b32_e32 v12, 0
	s_waitcnt lgkmcnt(0)
	s_barrier
	s_and_saveexec_b64 s[24:25], vcc
	s_cbranch_execz .LBB2_18
.LBB2_10:
	v_add_lshl_u32 v4, s27, v3, 7
	v_or_b32_e32 v0, v2, v4
	v_lshlrev_b64 v[14:15], 2, v[0:1]
	v_mov_b32_e32 v0, s21
	v_add_co_u32_e64 v14, s[16:17], s20, v14
	v_addc_co_u32_e64 v15, s[16:17], v0, v15, s[16:17]
	global_load_dword v0, v[14:15], off
	s_waitcnt vmcnt(0)
	ds_write_b32 v8, v0
	s_and_b64 exec, exec, s[2:3]
	s_cbranch_execz .LBB2_18
; %bb.11:
	v_add_co_u32_e64 v4, s[16:17], v2, v4
	v_addc_co_u32_e64 v5, s[16:17], 0, 0, s[16:17]
	v_lshlrev_b64 v[4:5], 2, v[4:5]
	v_mov_b32_e32 v0, s21
	v_add_co_u32_e64 v4, s[16:17], s20, v4
	v_addc_co_u32_e64 v5, s[16:17], v0, v5, s[16:17]
	global_load_dword v0, v[4:5], off offset:64
	s_waitcnt vmcnt(0)
	ds_write_b32 v8, v0 offset:64
	s_and_saveexec_b64 s[16:17], s[4:5]
	s_xor_b64 s[16:17], exec, s[16:17]
	s_cbranch_execz .LBB2_18
; %bb.12:
	global_load_dword v0, v[4:5], off offset:128
	s_waitcnt vmcnt(0)
	ds_write_b32 v8, v0 offset:128
	s_and_saveexec_b64 s[16:17], s[6:7]
	s_xor_b64 s[16:17], exec, s[16:17]
	s_cbranch_execz .LBB2_18
; %bb.13:
	;; [unrolled: 7-line block ×6, first 2 shown]
	global_load_dword v0, v[4:5], off offset:448
	s_waitcnt vmcnt(0)
	ds_write_b32 v8, v0 offset:448
.LBB2_18:                               ; =>This Loop Header: Depth=1
                                        ;     Child Loop BB2_19 Depth 2
	s_or_b64 exec, exec, s[24:25]
	s_mov_b32 s16, 0
	v_mov_b32_e32 v0, 0
	s_waitcnt lgkmcnt(0)
	s_barrier
.LBB2_19:                               ;   Parent Loop BB2_18 Depth=1
                                        ; =>  This Inner Loop Header: Depth=2
	v_add_u32_e32 v4, s16, v10
	v_add_u32_e32 v13, s16, v9
	ds_read_b128 v[14:17], v4
	ds_read_b128 v[18:21], v4 offset:16
	ds_read_b128 v[22:25], v4 offset:32
	;; [unrolled: 1-line block ×3, first 2 shown]
	ds_read2_b32 v[4:5], v13 offset1:1
	ds_read2_b32 v[30:31], v13 offset0:2 offset1:3
	ds_read2_b32 v[32:33], v13 offset0:4 offset1:5
	;; [unrolled: 1-line block ×7, first 2 shown]
	s_waitcnt lgkmcnt(7)
	v_fmac_f32_e32 v0, v4, v14
	v_fmac_f32_e32 v0, v5, v15
	s_waitcnt lgkmcnt(6)
	v_fmac_f32_e32 v0, v30, v16
	v_fmac_f32_e32 v0, v31, v17
	;; [unrolled: 3-line block ×7, first 2 shown]
	s_add_i32 s16, s16, 64
	s_waitcnt lgkmcnt(0)
	v_fmac_f32_e32 v0, v42, v28
	s_cmpk_eq_i32 s16, 0x200
	v_fmac_f32_e32 v0, v43, v29
	s_cbranch_scc0 .LBB2_19
; %bb.20:                               ;   in Loop: Header=BB2_18 Depth=1
	ds_write_b32 v6, v0
	s_waitcnt lgkmcnt(0)
	s_barrier
	s_and_saveexec_b64 s[24:25], s[0:1]
	s_cbranch_execz .LBB2_22
; %bb.21:                               ;   in Loop: Header=BB2_18 Depth=1
	ds_read2_b32 v[4:5], v7 offset1:16
	ds_read2_b32 v[14:15], v7 offset0:32 offset1:48
	v_mov_b32_e32 v0, s27
	s_or_b32 s28, s27, 1
	s_waitcnt lgkmcnt(1)
	v_cmp_gt_f32_e64 s[16:17], v4, v12
	v_cndmask_b32_e64 v4, v12, v4, s[16:17]
	v_cndmask_b32_e64 v0, v11, v0, s[16:17]
	v_cmp_gt_f32_e64 s[16:17], v5, v4
	v_cndmask_b32_e64 v4, v4, v5, s[16:17]
	v_mov_b32_e32 v5, s28
	v_cndmask_b32_e64 v0, v0, v5, s[16:17]
	s_or_b32 s28, s27, 2
	s_waitcnt lgkmcnt(0)
	v_cmp_gt_f32_e64 s[16:17], v14, v4
	v_cndmask_b32_e64 v11, v4, v14, s[16:17]
	v_mov_b32_e32 v4, s28
	v_cndmask_b32_e64 v0, v0, v4, s[16:17]
	ds_read2_b32 v[4:5], v7 offset0:64 offset1:80
	s_or_b32 s28, s27, 3
	v_cmp_gt_f32_e64 s[16:17], v15, v11
	v_mov_b32_e32 v12, s28
	v_cndmask_b32_e64 v11, v11, v15, s[16:17]
	v_cndmask_b32_e64 v0, v0, v12, s[16:17]
	ds_read2_b32 v[12:13], v7 offset0:96 offset1:112
	s_or_b32 s28, s27, 4
	s_waitcnt lgkmcnt(1)
	v_cmp_gt_f32_e64 s[16:17], v4, v11
	v_cndmask_b32_e64 v4, v11, v4, s[16:17]
	v_mov_b32_e32 v11, s28
	v_cndmask_b32_e64 v0, v0, v11, s[16:17]
	s_or_b32 s28, s27, 5
	v_cmp_gt_f32_e64 s[16:17], v5, v4
	v_cndmask_b32_e64 v4, v4, v5, s[16:17]
	v_mov_b32_e32 v5, s28
	v_cndmask_b32_e64 v0, v0, v5, s[16:17]
	s_or_b32 s28, s27, 6
	s_waitcnt lgkmcnt(0)
	v_cmp_gt_f32_e64 s[16:17], v12, v4
	v_cndmask_b32_e64 v11, v4, v12, s[16:17]
	v_mov_b32_e32 v4, s28
	v_cndmask_b32_e64 v0, v0, v4, s[16:17]
	ds_read2_b32 v[4:5], v7 offset0:128 offset1:144
	s_or_b32 s28, s27, 7
	v_cmp_gt_f32_e64 s[16:17], v13, v11
	v_mov_b32_e32 v12, s28
	v_cndmask_b32_e64 v11, v11, v13, s[16:17]
	v_cndmask_b32_e64 v0, v0, v12, s[16:17]
	ds_read2_b32 v[12:13], v7 offset0:160 offset1:176
	s_or_b32 s28, s27, 8
	s_waitcnt lgkmcnt(1)
	v_cmp_gt_f32_e64 s[16:17], v4, v11
	v_cndmask_b32_e64 v4, v11, v4, s[16:17]
	v_mov_b32_e32 v11, s28
	v_cndmask_b32_e64 v0, v0, v11, s[16:17]
	s_or_b32 s28, s27, 9
	;; [unrolled: 24-line block ×3, first 2 shown]
	v_cmp_gt_f32_e64 s[16:17], v5, v4
	v_cndmask_b32_e64 v4, v4, v5, s[16:17]
	v_mov_b32_e32 v5, s28
	v_cndmask_b32_e64 v0, v0, v5, s[16:17]
	s_or_b32 s28, s27, 14
	s_waitcnt lgkmcnt(0)
	v_cmp_gt_f32_e64 s[16:17], v12, v4
	v_cndmask_b32_e64 v4, v4, v12, s[16:17]
	v_mov_b32_e32 v5, s28
	v_cndmask_b32_e64 v0, v0, v5, s[16:17]
	s_or_b32 s28, s27, 15
	v_cmp_gt_f32_e64 s[16:17], v13, v4
	v_cndmask_b32_e64 v12, v4, v13, s[16:17]
	v_mov_b32_e32 v4, s28
	v_cndmask_b32_e64 v11, v0, v4, s[16:17]
.LBB2_22:                               ;   in Loop: Header=BB2_18 Depth=1
	s_or_b64 exec, exec, s[24:25]
	s_add_i32 s16, s27, 16
	s_cmpk_gt_u32 s27, 0x3fef
	s_barrier
	s_cbranch_scc1 .LBB2_24
; %bb.23:                               ;   in Loop: Header=BB2_18 Depth=1
	s_mov_b32 s27, s16
	s_and_saveexec_b64 s[24:25], vcc
	s_cbranch_execnz .LBB2_10
	s_branch .LBB2_18
.LBB2_24:
	s_and_saveexec_b64 s[2:3], s[0:1]
	s_cbranch_execz .LBB2_26
; %bb.25:
	v_add_u32_e32 v0, s26, v2
	v_ashrrev_i32_e32 v1, 31, v0
	v_lshlrev_b64 v[0:1], 2, v[0:1]
	v_mov_b32_e32 v3, s19
	v_add_co_u32_e32 v2, vcc, s18, v0
	v_addc_co_u32_e32 v3, vcc, v3, v1, vcc
	v_mov_b32_e32 v4, s23
	v_add_co_u32_e32 v0, vcc, s22, v0
	v_addc_co_u32_e32 v1, vcc, v4, v1, vcc
	global_store_dword v[0:1], v12, off
	global_store_dword v[2:3], v11, off
.LBB2_26:
	s_endpgm
	.section	.rodata,"a",@progbits
	.p2align	6, 0x0
	.amdhsa_kernel _Z6Match3PKfS0_PfPi
		.amdhsa_group_segment_fixed_size 17472
		.amdhsa_private_segment_fixed_size 0
		.amdhsa_kernarg_size 32
		.amdhsa_user_sgpr_count 6
		.amdhsa_user_sgpr_private_segment_buffer 1
		.amdhsa_user_sgpr_dispatch_ptr 0
		.amdhsa_user_sgpr_queue_ptr 0
		.amdhsa_user_sgpr_kernarg_segment_ptr 1
		.amdhsa_user_sgpr_dispatch_id 0
		.amdhsa_user_sgpr_flat_scratch_init 0
		.amdhsa_user_sgpr_kernarg_preload_length 0
		.amdhsa_user_sgpr_kernarg_preload_offset 0
		.amdhsa_user_sgpr_private_segment_size 0
		.amdhsa_uses_dynamic_stack 0
		.amdhsa_system_sgpr_private_segment_wavefront_offset 0
		.amdhsa_system_sgpr_workgroup_id_x 1
		.amdhsa_system_sgpr_workgroup_id_y 0
		.amdhsa_system_sgpr_workgroup_id_z 0
		.amdhsa_system_sgpr_workgroup_info 0
		.amdhsa_system_vgpr_workitem_id 1
		.amdhsa_next_free_vgpr 44
		.amdhsa_next_free_sgpr 29
		.amdhsa_accum_offset 44
		.amdhsa_reserve_vcc 1
		.amdhsa_reserve_flat_scratch 0
		.amdhsa_float_round_mode_32 0
		.amdhsa_float_round_mode_16_64 0
		.amdhsa_float_denorm_mode_32 3
		.amdhsa_float_denorm_mode_16_64 3
		.amdhsa_dx10_clamp 1
		.amdhsa_ieee_mode 1
		.amdhsa_fp16_overflow 0
		.amdhsa_tg_split 0
		.amdhsa_exception_fp_ieee_invalid_op 0
		.amdhsa_exception_fp_denorm_src 0
		.amdhsa_exception_fp_ieee_div_zero 0
		.amdhsa_exception_fp_ieee_overflow 0
		.amdhsa_exception_fp_ieee_underflow 0
		.amdhsa_exception_fp_ieee_inexact 0
		.amdhsa_exception_int_div_zero 0
	.end_amdhsa_kernel
	.text
.Lfunc_end2:
	.size	_Z6Match3PKfS0_PfPi, .Lfunc_end2-_Z6Match3PKfS0_PfPi
                                        ; -- End function
	.section	.AMDGPU.csdata,"",@progbits
; Kernel info:
; codeLenInByte = 1972
; NumSgprs: 33
; NumVgprs: 44
; NumAgprs: 0
; TotalNumVgprs: 44
; ScratchSize: 0
; MemoryBound: 0
; FloatMode: 240
; IeeeMode: 1
; LDSByteSize: 17472 bytes/workgroup (compile time only)
; SGPRBlocks: 4
; VGPRBlocks: 5
; NumSGPRsForWavesPerEU: 33
; NumVGPRsForWavesPerEU: 44
; AccumOffset: 44
; Occupancy: 8
; WaveLimiterHint : 0
; COMPUTE_PGM_RSRC2:SCRATCH_EN: 0
; COMPUTE_PGM_RSRC2:USER_SGPR: 6
; COMPUTE_PGM_RSRC2:TRAP_HANDLER: 0
; COMPUTE_PGM_RSRC2:TGID_X_EN: 1
; COMPUTE_PGM_RSRC2:TGID_Y_EN: 0
; COMPUTE_PGM_RSRC2:TGID_Z_EN: 0
; COMPUTE_PGM_RSRC2:TIDIG_COMP_CNT: 1
; COMPUTE_PGM_RSRC3_GFX90A:ACCUM_OFFSET: 10
; COMPUTE_PGM_RSRC3_GFX90A:TG_SPLIT: 0
	.text
	.protected	_Z6Match4PKfS0_PfPi     ; -- Begin function _Z6Match4PKfS0_PfPi
	.globl	_Z6Match4PKfS0_PfPi
	.p2align	8
	.type	_Z6Match4PKfS0_PfPi,@function
_Z6Match4PKfS0_PfPi:                    ; @_Z6Match4PKfS0_PfPi
; %bb.0:
	s_load_dwordx4 s[8:11], s[4:5], 0x8
	s_load_dwordx2 s[12:13], s[4:5], 0x18
	v_and_b32_e32 v4, 0x3ff, v0
	v_bfe_u32 v0, v0, 10, 10
	v_cmp_gt_u32_e32 vcc, 16, v0
	v_cmp_gt_u32_e64 s[0:1], 32, v4
	s_lshl_b32 s14, s6, 4
	s_and_b64 s[6:7], vcc, s[0:1]
	s_and_saveexec_b64 s[2:3], s[6:7]
	s_cbranch_execz .LBB3_3
; %bb.1:
	s_load_dwordx2 s[4:5], s[4:5], 0x0
	v_or_b32_e32 v1, s14, v0
	v_mul_u32_u24_e32 v2, 33, v0
	v_lshlrev_b32_e32 v1, 5, v1
	v_add_lshl_u32 v2, v2, v4, 4
	s_mov_b64 s[6:7], 0
	s_waitcnt lgkmcnt(0)
	v_mov_b32_e32 v3, s5
	v_mov_b32_e32 v5, v4
.LBB3_2:                                ; =>This Inner Loop Header: Depth=1
	v_add_u32_e32 v6, v1, v5
	v_ashrrev_i32_e32 v7, 31, v6
	v_lshlrev_b64 v[6:7], 4, v[6:7]
	v_add_co_u32_e32 v6, vcc, s4, v6
	v_addc_co_u32_e32 v7, vcc, v3, v7, vcc
	global_load_dwordx4 v[6:9], v[6:7], off
	v_add_u32_e32 v10, 16, v5
	v_cmp_lt_u32_e32 vcc, 15, v5
	s_or_b64 s[6:7], vcc, s[6:7]
	v_mov_b32_e32 v5, v10
	s_waitcnt vmcnt(0)
	ds_write_b128 v2, v[6:9]
	v_add_u32_e32 v2, 0x100, v2
	s_andn2_b64 exec, exec, s[6:7]
	s_cbranch_execnz .LBB3_2
.LBB3_3:
	s_or_b64 exec, exec, s[2:3]
	v_mul_u32_u24_e32 v2, 33, v4
	v_lshlrev_b32_e32 v3, 5, v0
	v_lshl_add_u32 v1, v0, 4, v4
	v_mov_b32_e32 v8, 0x4100
	v_cmp_eq_u32_e64 s[2:3], 0, v0
	v_lshlrev_b32_e32 v6, 4, v2
	v_lshlrev_b32_e32 v2, 9, v0
	v_add_lshl_u32 v0, v4, v3, 4
	v_lshl_add_u32 v5, v1, 2, v8
	s_movk_i32 s4, 0x2100
	s_waitcnt lgkmcnt(0)
	v_mov_b32_e32 v1, s9
	v_add_co_u32_e32 v0, vcc, s8, v0
	v_lshlrev_b32_e32 v3, 4, v4
	s_mov_b32 s15, 0
	v_add_u32_e32 v7, 0x2100, v2
	v_lshl_add_u32 v8, v4, 2, v8
	v_add_u32_e32 v9, -16, v4
	v_mov_b32_e32 v11, 0
	v_addc_co_u32_e32 v1, vcc, 0, v1, vcc
	v_add3_u32 v10, v2, v3, s4
	v_mov_b32_e32 v12, -1
	s_barrier
	s_and_saveexec_b64 s[6:7], s[0:1]
	s_cbranch_execz .LBB3_6
.LBB3_4:
	s_mov_b64 s[8:9], 0
	v_mov_b32_e32 v13, v10
	v_pk_mov_b32 v[2:3], v[0:1], v[0:1] op_sel:[0,1]
	v_mov_b32_e32 v14, v9
.LBB3_5:                                ; =>This Inner Loop Header: Depth=1
	global_load_dwordx4 v[16:19], v[2:3], off
	v_add_co_u32_e64 v14, s[4:5], 16, v14
	s_xor_b64 s[4:5], s[4:5], -1
	v_add_co_u32_e32 v2, vcc, 0x100, v2
	s_and_b64 s[4:5], exec, s[4:5]
	v_addc_co_u32_e32 v3, vcc, 0, v3, vcc
	s_or_b64 s[8:9], s[4:5], s[8:9]
	s_waitcnt vmcnt(0)
	ds_write_b128 v13, v[16:19]
	v_add_u32_e32 v13, 0x100, v13
	s_andn2_b64 exec, exec, s[8:9]
	s_cbranch_execnz .LBB3_5
.LBB3_6:                                ; =>This Inner Loop Header: Depth=1
	s_or_b64 exec, exec, s[6:7]
	s_waitcnt lgkmcnt(0)
	s_barrier
	ds_read_b128 v[14:17], v6
	ds_read_b128 v[18:21], v6 offset:16
	ds_read_b128 v[22:25], v7
	ds_read_b128 v[26:29], v6 offset:32
	ds_read_b128 v[30:33], v6 offset:48
	;; [unrolled: 1-line block ×5, first 2 shown]
	s_waitcnt lgkmcnt(5)
	v_fma_f32 v2, v14, v22, 0
	v_fmac_f32_e32 v2, v15, v23
	v_fmac_f32_e32 v2, v16, v24
	;; [unrolled: 1-line block ×3, first 2 shown]
	s_waitcnt lgkmcnt(2)
	v_fmac_f32_e32 v2, v18, v34
	v_fmac_f32_e32 v2, v19, v35
	;; [unrolled: 1-line block ×4, first 2 shown]
	s_waitcnt lgkmcnt(1)
	v_fmac_f32_e32 v2, v26, v38
	v_fmac_f32_e32 v2, v27, v39
	v_fmac_f32_e32 v2, v28, v40
	v_fmac_f32_e32 v2, v29, v41
	ds_read_b128 v[14:17], v7 offset:64
	ds_read_b128 v[18:21], v6 offset:64
	s_waitcnt lgkmcnt(2)
	v_fmac_f32_e32 v2, v30, v42
	v_fmac_f32_e32 v2, v31, v43
	v_fmac_f32_e32 v2, v32, v44
	v_fmac_f32_e32 v2, v33, v45
	ds_read_b128 v[22:25], v6 offset:80
	ds_read_b128 v[26:29], v7 offset:80
	;; [unrolled: 7-line block ×24, first 2 shown]
	s_waitcnt lgkmcnt(2)
	v_fmac_f32_e32 v2, v18, v14
	v_fmac_f32_e32 v2, v19, v15
	;; [unrolled: 1-line block ×4, first 2 shown]
	s_waitcnt lgkmcnt(0)
	v_fmac_f32_e32 v2, v22, v26
	ds_read_b128 v[14:17], v7 offset:448
	ds_read_b128 v[18:21], v6 offset:448
	v_fmac_f32_e32 v2, v23, v27
	v_fmac_f32_e32 v2, v24, v28
	;; [unrolled: 1-line block ×3, first 2 shown]
	ds_read_b128 v[22:25], v6 offset:464
	ds_read_b128 v[26:29], v7 offset:464
	s_waitcnt lgkmcnt(2)
	v_fmac_f32_e32 v2, v18, v14
	v_fmac_f32_e32 v2, v19, v15
	;; [unrolled: 1-line block ×4, first 2 shown]
	s_waitcnt lgkmcnt(0)
	v_pk_mul_f32 v[14:15], v[22:23], v[26:27]
	v_add_f32_e32 v2, v2, v14
	v_add_f32_e32 v13, v2, v15
	ds_read_b128 v[14:17], v7 offset:480
	ds_read_b128 v[18:21], v6 offset:480
	v_pk_mul_f32 v[2:3], v[24:25], v[28:29]
	v_add_f32_e32 v2, v13, v2
	ds_read_b128 v[22:25], v6 offset:496
	ds_read_b128 v[26:29], v7 offset:496
	v_add_f32_e32 v13, v2, v3
	s_waitcnt lgkmcnt(2)
	v_pk_mul_f32 v[2:3], v[18:19], v[14:15]
	v_add_f32_e32 v2, v13, v2
	v_add_f32_e32 v13, v2, v3
	v_pk_mul_f32 v[2:3], v[20:21], v[16:17]
	v_add_f32_e32 v2, v13, v2
	v_add_f32_e32 v13, v2, v3
	s_waitcnt lgkmcnt(0)
	v_pk_mul_f32 v[2:3], v[22:23], v[26:27]
	v_add_f32_e32 v2, v13, v2
	v_add_f32_e32 v13, v2, v3
	v_pk_mul_f32 v[2:3], v[24:25], v[28:29]
	v_add_f32_e32 v2, v13, v2
	v_add_f32_e32 v2, v2, v3
	ds_write_b32 v5, v2
	s_waitcnt lgkmcnt(0)
	s_barrier
	s_and_saveexec_b64 s[4:5], s[2:3]
	s_cbranch_execz .LBB3_8
; %bb.7:                                ;   in Loop: Header=BB3_6 Depth=1
	ds_read2_b32 v[2:3], v8 offset1:16
	v_mov_b32_e32 v13, s15
	s_or_b32 s6, s15, 1
	v_mov_b32_e32 v14, s6
	s_or_b32 s6, s15, 2
	s_waitcnt lgkmcnt(0)
	v_cmp_gt_f32_e32 vcc, v2, v11
	v_cndmask_b32_e32 v15, v12, v13, vcc
	ds_read2_b32 v[12:13], v8 offset0:32 offset1:48
	v_cndmask_b32_e32 v2, v11, v2, vcc
	v_cmp_gt_f32_e32 vcc, v3, v2
	v_cndmask_b32_e32 v2, v2, v3, vcc
	v_cndmask_b32_e32 v11, v15, v14, vcc
	v_mov_b32_e32 v3, s6
	s_waitcnt lgkmcnt(0)
	v_cmp_gt_f32_e32 vcc, v12, v2
	v_cndmask_b32_e32 v11, v11, v3, vcc
	v_cndmask_b32_e32 v12, v2, v12, vcc
	ds_read2_b32 v[2:3], v8 offset0:64 offset1:80
	s_or_b32 s6, s15, 3
	v_cmp_gt_f32_e32 vcc, v13, v12
	v_mov_b32_e32 v14, s6
	v_cndmask_b32_e32 v12, v12, v13, vcc
	s_or_b32 s6, s15, 4
	v_cndmask_b32_e32 v11, v11, v14, vcc
	v_mov_b32_e32 v13, s6
	s_waitcnt lgkmcnt(0)
	v_cmp_gt_f32_e32 vcc, v2, v12
	v_cndmask_b32_e32 v11, v11, v13, vcc
	v_cndmask_b32_e32 v2, v12, v2, vcc
	ds_read2_b32 v[12:13], v8 offset0:96 offset1:112
	s_or_b32 s6, s15, 5
	v_cmp_gt_f32_e32 vcc, v3, v2
	v_mov_b32_e32 v14, s6
	v_cndmask_b32_e32 v2, v2, v3, vcc
	s_or_b32 s6, s15, 6
	;; [unrolled: 12-line block ×5, first 2 shown]
	v_cndmask_b32_e32 v11, v11, v14, vcc
	v_mov_b32_e32 v13, s6
	s_waitcnt lgkmcnt(0)
	v_cmp_gt_f32_e32 vcc, v2, v12
	v_cndmask_b32_e32 v11, v11, v13, vcc
	v_cndmask_b32_e32 v2, v12, v2, vcc
	ds_read2_b32 v[12:13], v8 offset0:224 offset1:240
	s_or_b32 s6, s15, 13
	v_cmp_gt_f32_e32 vcc, v3, v2
	v_mov_b32_e32 v14, s6
	v_cndmask_b32_e32 v2, v2, v3, vcc
	v_cndmask_b32_e32 v11, v11, v14, vcc
	s_or_b32 s6, s15, 14
	s_waitcnt lgkmcnt(0)
	v_cmp_gt_f32_e32 vcc, v12, v2
	v_mov_b32_e32 v3, s6
	v_cndmask_b32_e32 v2, v2, v12, vcc
	s_or_b32 s6, s15, 15
	v_cndmask_b32_e32 v3, v11, v3, vcc
	v_mov_b32_e32 v11, s6
	v_cmp_gt_f32_e32 vcc, v13, v2
	v_cndmask_b32_e32 v12, v3, v11, vcc
	v_cndmask_b32_e32 v11, v2, v13, vcc
.LBB3_8:                                ;   in Loop: Header=BB3_6 Depth=1
	s_or_b64 exec, exec, s[4:5]
	s_add_i32 s4, s15, 16
	v_add_co_u32_e32 v0, vcc, 0x2000, v0
	s_cmpk_gt_u32 s15, 0x3fef
	v_addc_co_u32_e32 v1, vcc, 0, v1, vcc
	s_barrier
	s_cbranch_scc1 .LBB3_10
; %bb.9:                                ;   in Loop: Header=BB3_6 Depth=1
	s_mov_b32 s15, s4
	s_and_saveexec_b64 s[6:7], s[0:1]
	s_cbranch_execnz .LBB3_4
	s_branch .LBB3_6
.LBB3_10:
	s_and_saveexec_b64 s[0:1], s[2:3]
	s_cbranch_execz .LBB3_12
; %bb.11:
	v_add_u32_e32 v0, s14, v4
	v_ashrrev_i32_e32 v1, 31, v0
	v_lshlrev_b64 v[0:1], 2, v[0:1]
	v_mov_b32_e32 v3, s13
	v_add_co_u32_e32 v2, vcc, s12, v0
	v_addc_co_u32_e32 v3, vcc, v3, v1, vcc
	v_mov_b32_e32 v4, s11
	v_add_co_u32_e32 v0, vcc, s10, v0
	v_addc_co_u32_e32 v1, vcc, v4, v1, vcc
	global_store_dword v[0:1], v11, off
	global_store_dword v[2:3], v12, off
.LBB3_12:
	s_endpgm
	.section	.rodata,"a",@progbits
	.p2align	6, 0x0
	.amdhsa_kernel _Z6Match4PKfS0_PfPi
		.amdhsa_group_segment_fixed_size 17664
		.amdhsa_private_segment_fixed_size 0
		.amdhsa_kernarg_size 32
		.amdhsa_user_sgpr_count 6
		.amdhsa_user_sgpr_private_segment_buffer 1
		.amdhsa_user_sgpr_dispatch_ptr 0
		.amdhsa_user_sgpr_queue_ptr 0
		.amdhsa_user_sgpr_kernarg_segment_ptr 1
		.amdhsa_user_sgpr_dispatch_id 0
		.amdhsa_user_sgpr_flat_scratch_init 0
		.amdhsa_user_sgpr_kernarg_preload_length 0
		.amdhsa_user_sgpr_kernarg_preload_offset 0
		.amdhsa_user_sgpr_private_segment_size 0
		.amdhsa_uses_dynamic_stack 0
		.amdhsa_system_sgpr_private_segment_wavefront_offset 0
		.amdhsa_system_sgpr_workgroup_id_x 1
		.amdhsa_system_sgpr_workgroup_id_y 0
		.amdhsa_system_sgpr_workgroup_id_z 0
		.amdhsa_system_sgpr_workgroup_info 0
		.amdhsa_system_vgpr_workitem_id 1
		.amdhsa_next_free_vgpr 46
		.amdhsa_next_free_sgpr 16
		.amdhsa_accum_offset 48
		.amdhsa_reserve_vcc 1
		.amdhsa_reserve_flat_scratch 0
		.amdhsa_float_round_mode_32 0
		.amdhsa_float_round_mode_16_64 0
		.amdhsa_float_denorm_mode_32 3
		.amdhsa_float_denorm_mode_16_64 3
		.amdhsa_dx10_clamp 1
		.amdhsa_ieee_mode 1
		.amdhsa_fp16_overflow 0
		.amdhsa_tg_split 0
		.amdhsa_exception_fp_ieee_invalid_op 0
		.amdhsa_exception_fp_denorm_src 0
		.amdhsa_exception_fp_ieee_div_zero 0
		.amdhsa_exception_fp_ieee_overflow 0
		.amdhsa_exception_fp_ieee_underflow 0
		.amdhsa_exception_fp_ieee_inexact 0
		.amdhsa_exception_int_div_zero 0
	.end_amdhsa_kernel
	.text
.Lfunc_end3:
	.size	_Z6Match4PKfS0_PfPi, .Lfunc_end3-_Z6Match4PKfS0_PfPi
                                        ; -- End function
	.section	.AMDGPU.csdata,"",@progbits
; Kernel info:
; codeLenInByte = 2172
; NumSgprs: 20
; NumVgprs: 46
; NumAgprs: 0
; TotalNumVgprs: 46
; ScratchSize: 0
; MemoryBound: 0
; FloatMode: 240
; IeeeMode: 1
; LDSByteSize: 17664 bytes/workgroup (compile time only)
; SGPRBlocks: 2
; VGPRBlocks: 5
; NumSGPRsForWavesPerEU: 20
; NumVGPRsForWavesPerEU: 46
; AccumOffset: 48
; Occupancy: 8
; WaveLimiterHint : 0
; COMPUTE_PGM_RSRC2:SCRATCH_EN: 0
; COMPUTE_PGM_RSRC2:USER_SGPR: 6
; COMPUTE_PGM_RSRC2:TRAP_HANDLER: 0
; COMPUTE_PGM_RSRC2:TGID_X_EN: 1
; COMPUTE_PGM_RSRC2:TGID_Y_EN: 0
; COMPUTE_PGM_RSRC2:TGID_Z_EN: 0
; COMPUTE_PGM_RSRC2:TIDIG_COMP_CNT: 1
; COMPUTE_PGM_RSRC3_GFX90A:ACCUM_OFFSET: 11
; COMPUTE_PGM_RSRC3_GFX90A:TG_SPLIT: 0
	.text
	.protected	_Z6Match5PKfS0_PfPi     ; -- Begin function _Z6Match5PKfS0_PfPi
	.globl	_Z6Match5PKfS0_PfPi
	.p2align	8
	.type	_Z6Match5PKfS0_PfPi,@function
_Z6Match5PKfS0_PfPi:                    ; @_Z6Match5PKfS0_PfPi
; %bb.0:
	s_load_dwordx4 s[8:11], s[4:5], 0x8
	s_load_dwordx2 s[12:13], s[4:5], 0x18
	v_and_b32_e32 v4, 0x3ff, v0
	v_bfe_u32 v2, v0, 10, 10
	v_cmp_gt_u32_e32 vcc, 16, v2
	v_cmp_gt_u32_e64 s[0:1], 32, v4
	s_lshl_b32 s16, s6, 4
	s_and_b64 s[6:7], vcc, s[0:1]
	s_and_saveexec_b64 s[2:3], s[6:7]
	s_cbranch_execz .LBB4_3
; %bb.1:
	s_load_dwordx2 s[4:5], s[4:5], 0x0
	v_or_b32_e32 v0, s16, v2
	v_mul_u32_u24_e32 v1, 33, v2
	v_lshlrev_b32_e32 v0, 5, v0
	v_add_lshl_u32 v1, v1, v4, 4
	s_mov_b64 s[6:7], 0
	s_waitcnt lgkmcnt(0)
	v_mov_b32_e32 v3, s5
	v_mov_b32_e32 v5, v4
.LBB4_2:                                ; =>This Inner Loop Header: Depth=1
	v_add_u32_e32 v6, v0, v5
	v_ashrrev_i32_e32 v7, 31, v6
	v_lshlrev_b64 v[6:7], 4, v[6:7]
	v_add_co_u32_e32 v6, vcc, s4, v6
	v_addc_co_u32_e32 v7, vcc, v3, v7, vcc
	global_load_dwordx4 v[6:9], v[6:7], off
	v_add_u32_e32 v10, 16, v5
	v_cmp_lt_u32_e32 vcc, 15, v5
	s_or_b64 s[6:7], vcc, s[6:7]
	v_mov_b32_e32 v5, v10
	s_waitcnt vmcnt(0)
	ds_write_b128 v1, v[6:9]
	v_add_u32_e32 v1, 0x100, v1
	s_andn2_b64 exec, exec, s[6:7]
	s_cbranch_execnz .LBB4_2
.LBB4_3:
	s_or_b64 exec, exec, s[2:3]
	v_lshlrev_b32_e32 v0, 5, v2
	v_lshl_add_u32 v1, v2, 6, v4
	v_mov_b32_e32 v6, 0x4100
	v_add_lshl_u32 v0, v4, v0, 4
	v_lshlrev_b32_e32 v8, 9, v2
	v_lshlrev_b32_e32 v9, 4, v4
	s_movk_i32 s6, 0x2100
	v_mul_u32_u24_e32 v3, 33, v4
	v_lshl_add_u32 v5, v1, 2, v6
	s_waitcnt lgkmcnt(0)
	v_mov_b32_e32 v1, s9
	v_add_co_u32_e32 v0, vcc, s8, v0
	v_add3_u32 v8, v8, v9, s6
	v_mov_b32_e32 v9, 0x2100
	v_cmp_gt_u32_e64 s[4:5], 4, v2
	s_mov_b32 s17, 0
	v_cmp_eq_u32_e64 s[2:3], 0, v2
	v_lshl_add_u32 v6, v4, 2, v6
	v_add_u32_e32 v7, -16, v4
	v_mov_b32_e32 v11, 0
	v_addc_co_u32_e32 v1, vcc, 0, v1, vcc
	v_lshl_add_u32 v9, v2, 11, v9
	v_lshlrev_b32_e32 v10, 4, v3
	v_mov_b32_e32 v12, -1
	s_barrier
	s_and_saveexec_b64 s[8:9], s[0:1]
	s_cbranch_execz .LBB4_6
.LBB4_4:
	s_mov_b64 s[14:15], 0
	v_mov_b32_e32 v13, v8
	v_pk_mov_b32 v[2:3], v[0:1], v[0:1] op_sel:[0,1]
	v_mov_b32_e32 v14, v7
.LBB4_5:                                ; =>This Inner Loop Header: Depth=1
	global_load_dwordx4 v[16:19], v[2:3], off
	v_add_co_u32_e64 v14, s[6:7], 16, v14
	s_xor_b64 s[6:7], s[6:7], -1
	v_add_co_u32_e32 v2, vcc, 0x100, v2
	s_and_b64 s[6:7], exec, s[6:7]
	v_addc_co_u32_e32 v3, vcc, 0, v3, vcc
	s_or_b64 s[14:15], s[6:7], s[14:15]
	s_waitcnt vmcnt(0)
	ds_write_b128 v13, v[16:19]
	v_add_u32_e32 v13, 0x100, v13
	s_andn2_b64 exec, exec, s[14:15]
	s_cbranch_execnz .LBB4_5
.LBB4_6:                                ; =>This Loop Header: Depth=1
                                        ;     Child Loop BB4_8 Depth 2
	s_or_b64 exec, exec, s[8:9]
	s_waitcnt lgkmcnt(0)
	s_barrier
	s_and_saveexec_b64 s[6:7], s[4:5]
	s_cbranch_execz .LBB4_10
; %bb.7:                                ;   in Loop: Header=BB4_6 Depth=1
	v_mov_b32_e32 v13, 0
	s_mov_b32 s8, 0
	v_mov_b32_e32 v14, 0
	v_mov_b32_e32 v2, 0
	;; [unrolled: 1-line block ×3, first 2 shown]
.LBB4_8:                                ;   Parent Loop BB4_6 Depth=1
                                        ; =>  This Inner Loop Header: Depth=2
	v_add_u32_e32 v52, s8, v9
	v_add_u32_e32 v15, s8, v10
	ds_read_b128 v[16:19], v52
	ds_read_b128 v[20:23], v52 offset:16
	ds_read_b128 v[24:27], v15
	ds_read_b128 v[28:31], v15 offset:16
	ds_read_b128 v[32:35], v52 offset:512
	;; [unrolled: 1-line block ×7, first 2 shown]
	s_waitcnt lgkmcnt(7)
	v_fmac_f32_e32 v13, v24, v16
	s_waitcnt lgkmcnt(5)
	v_fmac_f32_e32 v14, v24, v32
	s_waitcnt lgkmcnt(3)
	v_mul_f32_e32 v16, v24, v40
	v_mul_f32_e32 v32, v25, v41
	s_waitcnt lgkmcnt(1)
	v_pk_mul_f32 v[40:41], v[24:25], v[48:49]
	v_fmac_f32_e32 v13, v25, v17
	v_mov_b32_e32 v17, v40
	v_pk_mul_f32 v[48:49], v[26:27], v[50:51]
	v_fmac_f32_e32 v14, v25, v33
	v_mov_b32_e32 v33, v41
	v_pk_add_f32 v[2:3], v[2:3], v[16:17]
	v_mul_f32_e32 v24, v26, v42
	v_mov_b32_e32 v25, v48
	v_pk_add_f32 v[2:3], v[2:3], v[32:33]
	v_mul_f32_e32 v42, v27, v43
	s_waitcnt lgkmcnt(0)
	v_pk_mul_f32 v[52:53], v[28:29], v[52:53]
	v_mov_b32_e32 v43, v49
	v_fmac_f32_e32 v13, v26, v18
	v_fmac_f32_e32 v14, v26, v34
	v_pk_add_f32 v[2:3], v[2:3], v[24:25]
	v_mul_f32_e32 v44, v28, v44
	v_mul_f32_e32 v50, v29, v45
	v_mov_b32_e32 v45, v52
	v_fmac_f32_e32 v13, v27, v19
	v_fmac_f32_e32 v14, v27, v35
	v_pk_add_f32 v[2:3], v[2:3], v[42:43]
	v_pk_mul_f32 v[54:55], v[30:31], v[54:55]
	v_mov_b32_e32 v51, v53
	v_fmac_f32_e32 v13, v28, v20
	v_fmac_f32_e32 v14, v28, v36
	v_pk_add_f32 v[2:3], v[2:3], v[44:45]
	v_mul_f32_e32 v46, v30, v46
	v_mul_f32_e32 v56, v31, v47
	v_mov_b32_e32 v47, v54
	v_fmac_f32_e32 v13, v29, v21
	v_fmac_f32_e32 v14, v29, v37
	v_pk_add_f32 v[2:3], v[2:3], v[50:51]
	s_add_i32 s8, s8, 32
	v_mov_b32_e32 v57, v55
	v_fmac_f32_e32 v13, v30, v22
	v_fmac_f32_e32 v14, v30, v38
	v_pk_add_f32 v[2:3], v[2:3], v[46:47]
	s_cmpk_eq_i32 s8, 0x200
	v_fmac_f32_e32 v13, v31, v23
	v_fmac_f32_e32 v14, v31, v39
	v_pk_add_f32 v[2:3], v[2:3], v[56:57]
	s_cbranch_scc0 .LBB4_8
; %bb.9:                                ;   in Loop: Header=BB4_6 Depth=1
	ds_write2_b32 v5, v13, v14 offset1:16
	ds_write2_b32 v5, v2, v3 offset0:32 offset1:48
.LBB4_10:                               ;   in Loop: Header=BB4_6 Depth=1
	s_or_b64 exec, exec, s[6:7]
	s_waitcnt lgkmcnt(0)
	s_barrier
	s_and_saveexec_b64 s[6:7], s[2:3]
	s_cbranch_execz .LBB4_12
; %bb.11:                               ;   in Loop: Header=BB4_6 Depth=1
	ds_read2_b32 v[2:3], v6 offset1:16
	v_mov_b32_e32 v13, s17
	s_or_b32 s8, s17, 1
	v_mov_b32_e32 v14, s8
	s_or_b32 s8, s17, 2
	s_waitcnt lgkmcnt(0)
	v_cmp_gt_f32_e32 vcc, v2, v11
	v_cndmask_b32_e32 v15, v12, v13, vcc
	ds_read2_b32 v[12:13], v6 offset0:32 offset1:48
	v_cndmask_b32_e32 v2, v11, v2, vcc
	v_cmp_gt_f32_e32 vcc, v3, v2
	v_cndmask_b32_e32 v2, v2, v3, vcc
	v_cndmask_b32_e32 v11, v15, v14, vcc
	v_mov_b32_e32 v3, s8
	s_waitcnt lgkmcnt(0)
	v_cmp_gt_f32_e32 vcc, v12, v2
	v_cndmask_b32_e32 v11, v11, v3, vcc
	v_cndmask_b32_e32 v12, v2, v12, vcc
	ds_read2_b32 v[2:3], v6 offset0:64 offset1:80
	s_or_b32 s8, s17, 3
	v_cmp_gt_f32_e32 vcc, v13, v12
	v_mov_b32_e32 v14, s8
	v_cndmask_b32_e32 v12, v12, v13, vcc
	s_or_b32 s8, s17, 4
	v_cndmask_b32_e32 v11, v11, v14, vcc
	v_mov_b32_e32 v13, s8
	s_waitcnt lgkmcnt(0)
	v_cmp_gt_f32_e32 vcc, v2, v12
	v_cndmask_b32_e32 v11, v11, v13, vcc
	v_cndmask_b32_e32 v2, v12, v2, vcc
	ds_read2_b32 v[12:13], v6 offset0:96 offset1:112
	s_or_b32 s8, s17, 5
	v_cmp_gt_f32_e32 vcc, v3, v2
	v_mov_b32_e32 v14, s8
	v_cndmask_b32_e32 v2, v2, v3, vcc
	s_or_b32 s8, s17, 6
	;; [unrolled: 12-line block ×5, first 2 shown]
	v_cndmask_b32_e32 v11, v11, v14, vcc
	v_mov_b32_e32 v13, s8
	s_waitcnt lgkmcnt(0)
	v_cmp_gt_f32_e32 vcc, v2, v12
	v_cndmask_b32_e32 v11, v11, v13, vcc
	v_cndmask_b32_e32 v2, v12, v2, vcc
	ds_read2_b32 v[12:13], v6 offset0:224 offset1:240
	s_or_b32 s8, s17, 13
	v_cmp_gt_f32_e32 vcc, v3, v2
	v_mov_b32_e32 v14, s8
	v_cndmask_b32_e32 v2, v2, v3, vcc
	v_cndmask_b32_e32 v11, v11, v14, vcc
	s_or_b32 s8, s17, 14
	s_waitcnt lgkmcnt(0)
	v_cmp_gt_f32_e32 vcc, v12, v2
	v_mov_b32_e32 v3, s8
	v_cndmask_b32_e32 v2, v2, v12, vcc
	s_or_b32 s8, s17, 15
	v_cndmask_b32_e32 v3, v11, v3, vcc
	v_mov_b32_e32 v11, s8
	v_cmp_gt_f32_e32 vcc, v13, v2
	v_cndmask_b32_e32 v12, v3, v11, vcc
	v_cndmask_b32_e32 v11, v2, v13, vcc
.LBB4_12:                               ;   in Loop: Header=BB4_6 Depth=1
	s_or_b64 exec, exec, s[6:7]
	s_add_i32 s6, s17, 16
	v_add_co_u32_e32 v0, vcc, 0x2000, v0
	s_cmpk_gt_u32 s17, 0x3fef
	v_addc_co_u32_e32 v1, vcc, 0, v1, vcc
	s_barrier
	s_cbranch_scc1 .LBB4_14
; %bb.13:                               ;   in Loop: Header=BB4_6 Depth=1
	s_mov_b32 s17, s6
	s_and_saveexec_b64 s[8:9], s[0:1]
	s_cbranch_execnz .LBB4_4
	s_branch .LBB4_6
.LBB4_14:
	s_and_saveexec_b64 s[0:1], s[2:3]
	s_cbranch_execz .LBB4_16
; %bb.15:
	v_add_u32_e32 v0, s16, v4
	v_ashrrev_i32_e32 v1, 31, v0
	v_lshlrev_b64 v[0:1], 2, v[0:1]
	v_mov_b32_e32 v3, s13
	v_add_co_u32_e32 v2, vcc, s12, v0
	v_addc_co_u32_e32 v3, vcc, v3, v1, vcc
	v_mov_b32_e32 v4, s11
	v_add_co_u32_e32 v0, vcc, s10, v0
	v_addc_co_u32_e32 v1, vcc, v4, v1, vcc
	global_store_dword v[0:1], v11, off
	global_store_dword v[2:3], v12, off
.LBB4_16:
	s_endpgm
	.section	.rodata,"a",@progbits
	.p2align	6, 0x0
	.amdhsa_kernel _Z6Match5PKfS0_PfPi
		.amdhsa_group_segment_fixed_size 17664
		.amdhsa_private_segment_fixed_size 0
		.amdhsa_kernarg_size 32
		.amdhsa_user_sgpr_count 6
		.amdhsa_user_sgpr_private_segment_buffer 1
		.amdhsa_user_sgpr_dispatch_ptr 0
		.amdhsa_user_sgpr_queue_ptr 0
		.amdhsa_user_sgpr_kernarg_segment_ptr 1
		.amdhsa_user_sgpr_dispatch_id 0
		.amdhsa_user_sgpr_flat_scratch_init 0
		.amdhsa_user_sgpr_kernarg_preload_length 0
		.amdhsa_user_sgpr_kernarg_preload_offset 0
		.amdhsa_user_sgpr_private_segment_size 0
		.amdhsa_uses_dynamic_stack 0
		.amdhsa_system_sgpr_private_segment_wavefront_offset 0
		.amdhsa_system_sgpr_workgroup_id_x 1
		.amdhsa_system_sgpr_workgroup_id_y 0
		.amdhsa_system_sgpr_workgroup_id_z 0
		.amdhsa_system_sgpr_workgroup_info 0
		.amdhsa_system_vgpr_workitem_id 1
		.amdhsa_next_free_vgpr 58
		.amdhsa_next_free_sgpr 18
		.amdhsa_accum_offset 60
		.amdhsa_reserve_vcc 1
		.amdhsa_reserve_flat_scratch 0
		.amdhsa_float_round_mode_32 0
		.amdhsa_float_round_mode_16_64 0
		.amdhsa_float_denorm_mode_32 3
		.amdhsa_float_denorm_mode_16_64 3
		.amdhsa_dx10_clamp 1
		.amdhsa_ieee_mode 1
		.amdhsa_fp16_overflow 0
		.amdhsa_tg_split 0
		.amdhsa_exception_fp_ieee_invalid_op 0
		.amdhsa_exception_fp_denorm_src 0
		.amdhsa_exception_fp_ieee_div_zero 0
		.amdhsa_exception_fp_ieee_overflow 0
		.amdhsa_exception_fp_ieee_underflow 0
		.amdhsa_exception_fp_ieee_inexact 0
		.amdhsa_exception_int_div_zero 0
	.end_amdhsa_kernel
	.text
.Lfunc_end4:
	.size	_Z6Match5PKfS0_PfPi, .Lfunc_end4-_Z6Match5PKfS0_PfPi
                                        ; -- End function
	.section	.AMDGPU.csdata,"",@progbits
; Kernel info:
; codeLenInByte = 1368
; NumSgprs: 22
; NumVgprs: 58
; NumAgprs: 0
; TotalNumVgprs: 58
; ScratchSize: 0
; MemoryBound: 0
; FloatMode: 240
; IeeeMode: 1
; LDSByteSize: 17664 bytes/workgroup (compile time only)
; SGPRBlocks: 2
; VGPRBlocks: 7
; NumSGPRsForWavesPerEU: 22
; NumVGPRsForWavesPerEU: 58
; AccumOffset: 60
; Occupancy: 8
; WaveLimiterHint : 0
; COMPUTE_PGM_RSRC2:SCRATCH_EN: 0
; COMPUTE_PGM_RSRC2:USER_SGPR: 6
; COMPUTE_PGM_RSRC2:TRAP_HANDLER: 0
; COMPUTE_PGM_RSRC2:TGID_X_EN: 1
; COMPUTE_PGM_RSRC2:TGID_Y_EN: 0
; COMPUTE_PGM_RSRC2:TGID_Z_EN: 0
; COMPUTE_PGM_RSRC2:TIDIG_COMP_CNT: 1
; COMPUTE_PGM_RSRC3_GFX90A:ACCUM_OFFSET: 14
; COMPUTE_PGM_RSRC3_GFX90A:TG_SPLIT: 0
	.text
	.protected	_Z6Match6PKfS0_PfPi     ; -- Begin function _Z6Match6PKfS0_PfPi
	.globl	_Z6Match6PKfS0_PfPi
	.p2align	8
	.type	_Z6Match6PKfS0_PfPi,@function
_Z6Match6PKfS0_PfPi:                    ; @_Z6Match6PKfS0_PfPi
; %bb.0:
	s_load_dwordx4 s[8:11], s[4:5], 0x8
	s_load_dwordx2 s[12:13], s[4:5], 0x18
	v_and_b32_e32 v4, 0x3ff, v0
	v_bfe_u32 v5, v0, 10, 10
	v_cmp_gt_u32_e32 vcc, 16, v5
	v_cmp_gt_u32_e64 s[0:1], 32, v4
	s_lshl_b32 s14, s6, 4
	s_and_b64 s[6:7], vcc, s[0:1]
	s_and_saveexec_b64 s[2:3], s[6:7]
	s_cbranch_execz .LBB5_3
; %bb.1:
	s_load_dwordx2 s[4:5], s[4:5], 0x0
	v_or_b32_e32 v0, s14, v5
	v_mul_u32_u24_e32 v1, 33, v5
	v_lshlrev_b32_e32 v0, 5, v0
	v_add_lshl_u32 v1, v1, v4, 4
	s_mov_b64 s[6:7], 0
	s_waitcnt lgkmcnt(0)
	v_mov_b32_e32 v2, s5
	v_mov_b32_e32 v3, v4
.LBB5_2:                                ; =>This Inner Loop Header: Depth=1
	v_add_u32_e32 v6, v0, v3
	v_ashrrev_i32_e32 v7, 31, v6
	v_lshlrev_b64 v[6:7], 4, v[6:7]
	v_add_co_u32_e32 v6, vcc, s4, v6
	v_addc_co_u32_e32 v7, vcc, v2, v7, vcc
	global_load_dwordx4 v[6:9], v[6:7], off
	v_add_u32_e32 v10, 16, v3
	v_cmp_lt_u32_e32 vcc, 15, v3
	s_or_b64 s[6:7], vcc, s[6:7]
	v_mov_b32_e32 v3, v10
	s_waitcnt vmcnt(0)
	ds_write_b128 v1, v[6:9]
	v_add_u32_e32 v1, 0x100, v1
	s_andn2_b64 exec, exec, s[6:7]
	s_cbranch_execnz .LBB5_2
.LBB5_3:
	s_or_b64 exec, exec, s[2:3]
	v_lshlrev_b32_e32 v0, 5, v5
	v_add_lshl_u32 v0, v4, v0, 4
	v_lshlrev_b32_e32 v3, 9, v5
	v_lshlrev_b32_e32 v9, 4, v4
	s_movk_i32 s4, 0x2100
	v_mul_u32_u24_e32 v2, 33, v4
	s_waitcnt lgkmcnt(0)
	v_mov_b32_e32 v1, s9
	v_add_co_u32_e32 v0, vcc, s8, v0
	v_add3_u32 v9, v3, v9, s4
	v_mov_b32_e32 v3, 0x2100
	v_cmp_gt_u32_e64 s[2:3], 4, v5
	v_lshlrev_b32_e32 v6, 2, v5
	v_add_u32_e32 v7, -16, v4
	v_mov_b32_e32 v8, 0
	v_addc_co_u32_e32 v1, vcc, 0, v1, vcc
	v_lshl_add_u32 v10, v5, 11, v3
	v_lshlrev_b32_e32 v11, 4, v2
	s_mov_b32 s15, 0
	v_mov_b32_e32 v12, -1
	s_and_saveexec_b64 s[6:7], s[0:1]
	s_cbranch_execz .LBB5_6
.LBB5_4:
	s_mov_b64 s[8:9], 0
	v_mov_b32_e32 v13, v9
	v_pk_mov_b32 v[2:3], v[0:1], v[0:1] op_sel:[0,1]
	v_mov_b32_e32 v14, v7
.LBB5_5:                                ; =>This Inner Loop Header: Depth=1
	global_load_dwordx4 v[16:19], v[2:3], off
	v_add_co_u32_e64 v14, s[4:5], 16, v14
	s_xor_b64 s[4:5], s[4:5], -1
	v_add_co_u32_e32 v2, vcc, 0x100, v2
	s_and_b64 s[4:5], exec, s[4:5]
	v_addc_co_u32_e32 v3, vcc, 0, v3, vcc
	s_or_b64 s[8:9], s[4:5], s[8:9]
	s_waitcnt vmcnt(0)
	ds_write_b128 v13, v[16:19]
	v_add_u32_e32 v13, 0x100, v13
	s_andn2_b64 exec, exec, s[8:9]
	s_cbranch_execnz .LBB5_5
.LBB5_6:                                ; =>This Loop Header: Depth=1
                                        ;     Child Loop BB5_8 Depth 2
	s_or_b64 exec, exec, s[6:7]
	s_waitcnt lgkmcnt(0)
	s_barrier
	s_and_saveexec_b64 s[4:5], s[2:3]
	s_cbranch_execz .LBB5_10
; %bb.7:                                ;   in Loop: Header=BB5_6 Depth=1
	v_mov_b32_e32 v14, 0
	s_mov_b32 s6, 0
	v_mov_b32_e32 v13, 0
	v_mov_b32_e32 v2, 0
	v_mov_b32_e32 v3, v14
.LBB5_8:                                ;   Parent Loop BB5_6 Depth=1
                                        ; =>  This Inner Loop Header: Depth=2
	v_add_u32_e32 v52, s6, v10
	v_add_u32_e32 v15, s6, v11
	ds_read_b128 v[16:19], v52
	ds_read_b128 v[20:23], v52 offset:16
	ds_read_b128 v[24:27], v15
	ds_read_b128 v[28:31], v15 offset:16
	ds_read_b128 v[32:35], v52 offset:512
	;; [unrolled: 1-line block ×7, first 2 shown]
	s_waitcnt lgkmcnt(7)
	v_fmac_f32_e32 v14, v24, v16
	s_waitcnt lgkmcnt(5)
	v_fmac_f32_e32 v13, v24, v32
	s_waitcnt lgkmcnt(3)
	v_mul_f32_e32 v16, v24, v40
	v_mul_f32_e32 v32, v25, v41
	s_waitcnt lgkmcnt(1)
	v_pk_mul_f32 v[40:41], v[24:25], v[48:49]
	v_fmac_f32_e32 v14, v25, v17
	v_mov_b32_e32 v17, v40
	v_pk_mul_f32 v[48:49], v[26:27], v[50:51]
	v_fmac_f32_e32 v13, v25, v33
	v_mov_b32_e32 v33, v41
	v_pk_add_f32 v[2:3], v[2:3], v[16:17]
	v_mul_f32_e32 v24, v26, v42
	v_mov_b32_e32 v25, v48
	v_pk_add_f32 v[2:3], v[2:3], v[32:33]
	v_mul_f32_e32 v42, v27, v43
	s_waitcnt lgkmcnt(0)
	v_pk_mul_f32 v[52:53], v[28:29], v[52:53]
	v_mov_b32_e32 v43, v49
	v_fmac_f32_e32 v14, v26, v18
	v_fmac_f32_e32 v13, v26, v34
	v_pk_add_f32 v[2:3], v[2:3], v[24:25]
	v_mul_f32_e32 v44, v28, v44
	v_mul_f32_e32 v50, v29, v45
	v_mov_b32_e32 v45, v52
	v_fmac_f32_e32 v14, v27, v19
	v_fmac_f32_e32 v13, v27, v35
	v_pk_add_f32 v[2:3], v[2:3], v[42:43]
	v_pk_mul_f32 v[54:55], v[30:31], v[54:55]
	v_mov_b32_e32 v51, v53
	v_fmac_f32_e32 v14, v28, v20
	v_fmac_f32_e32 v13, v28, v36
	v_pk_add_f32 v[2:3], v[2:3], v[44:45]
	v_mul_f32_e32 v46, v30, v46
	v_mul_f32_e32 v56, v31, v47
	v_mov_b32_e32 v47, v54
	v_fmac_f32_e32 v14, v29, v21
	v_fmac_f32_e32 v13, v29, v37
	v_pk_add_f32 v[2:3], v[2:3], v[50:51]
	s_add_i32 s6, s6, 32
	v_mov_b32_e32 v57, v55
	v_fmac_f32_e32 v14, v30, v22
	v_fmac_f32_e32 v13, v30, v38
	v_pk_add_f32 v[2:3], v[2:3], v[46:47]
	s_cmpk_eq_i32 s6, 0x200
	v_fmac_f32_e32 v14, v31, v23
	v_fmac_f32_e32 v13, v31, v39
	v_pk_add_f32 v[2:3], v[2:3], v[56:57]
	s_cbranch_scc0 .LBB5_8
; %bb.9:                                ;   in Loop: Header=BB5_6 Depth=1
	v_cmp_gt_f32_e32 vcc, v14, v8
	v_or_b32_e32 v15, s15, v6
	v_cndmask_b32_e32 v8, v8, v14, vcc
	v_cndmask_b32_e32 v12, v12, v15, vcc
	v_cmp_gt_f32_e32 vcc, v13, v8
	v_or_b32_e32 v14, 1, v15
	v_cndmask_b32_e32 v8, v8, v13, vcc
	v_cndmask_b32_e32 v12, v12, v14, vcc
	;; [unrolled: 4-line block ×3, first 2 shown]
	v_or_b32_e32 v8, 3, v15
	v_cmp_gt_f32_e32 vcc, v3, v2
	v_cndmask_b32_e32 v12, v12, v8, vcc
	v_cndmask_b32_e32 v8, v2, v3, vcc
.LBB5_10:                               ;   in Loop: Header=BB5_6 Depth=1
	s_or_b64 exec, exec, s[4:5]
	s_add_i32 s4, s15, 16
	v_add_co_u32_e32 v0, vcc, 0x2000, v0
	s_cmpk_gt_u32 s15, 0x3fef
	v_addc_co_u32_e32 v1, vcc, 0, v1, vcc
	s_barrier
	s_cbranch_scc1 .LBB5_12
; %bb.11:                               ;   in Loop: Header=BB5_6 Depth=1
	s_mov_b32 s15, s4
	s_and_saveexec_b64 s[6:7], s[0:1]
	s_cbranch_execnz .LBB5_4
	s_branch .LBB5_6
.LBB5_12:
	s_and_saveexec_b64 s[0:1], s[2:3]
	s_cbranch_execz .LBB5_14
; %bb.13:
	v_lshlrev_b32_e32 v0, 4, v5
	v_add_lshl_u32 v0, v0, v4, 2
	ds_write2st64_b32 v0, v8, v12 offset1:1
.LBB5_14:
	s_or_b64 exec, exec, s[0:1]
	v_cmp_eq_u32_e32 vcc, 0, v5
	s_waitcnt lgkmcnt(0)
	s_barrier
	s_and_saveexec_b64 s[0:1], vcc
	s_cbranch_execz .LBB5_16
; %bb.15:
	v_lshlrev_b32_e32 v2, 2, v4
	ds_read2_b32 v[0:1], v2 offset1:16
	ds_read2_b32 v[2:3], v2 offset0:32 offset1:48
	v_add_u32_e32 v5, 16, v4
	v_add_u32_e32 v6, 32, v4
	s_waitcnt lgkmcnt(1)
	v_cmp_gt_f32_e32 vcc, v1, v0
	v_cndmask_b32_e32 v0, v0, v1, vcc
	v_cndmask_b32_e32 v5, v4, v5, vcc
	s_waitcnt lgkmcnt(0)
	v_cmp_gt_f32_e32 vcc, v2, v0
	v_cndmask_b32_e32 v0, v0, v2, vcc
	v_cndmask_b32_e32 v1, v5, v6, vcc
	v_add_u32_e32 v2, 48, v4
	v_cmp_gt_f32_e32 vcc, v3, v0
	v_cndmask_b32_e32 v1, v1, v2, vcc
	v_cndmask_b32_e32 v5, v0, v3, vcc
	v_lshlrev_b32_e32 v0, 2, v1
	ds_read_b32 v6, v0 offset:256
	v_add_u32_e32 v0, s14, v4
	v_ashrrev_i32_e32 v1, 31, v0
	v_lshlrev_b64 v[0:1], 2, v[0:1]
	v_mov_b32_e32 v3, s11
	v_add_co_u32_e32 v2, vcc, s10, v0
	v_addc_co_u32_e32 v3, vcc, v3, v1, vcc
	global_store_dword v[2:3], v5, off
	v_mov_b32_e32 v2, s13
	v_add_co_u32_e32 v0, vcc, s12, v0
	v_addc_co_u32_e32 v1, vcc, v2, v1, vcc
	s_waitcnt lgkmcnt(0)
	global_store_dword v[0:1], v6, off
.LBB5_16:
	s_endpgm
	.section	.rodata,"a",@progbits
	.p2align	6, 0x0
	.amdhsa_kernel _Z6Match6PKfS0_PfPi
		.amdhsa_group_segment_fixed_size 16640
		.amdhsa_private_segment_fixed_size 0
		.amdhsa_kernarg_size 32
		.amdhsa_user_sgpr_count 6
		.amdhsa_user_sgpr_private_segment_buffer 1
		.amdhsa_user_sgpr_dispatch_ptr 0
		.amdhsa_user_sgpr_queue_ptr 0
		.amdhsa_user_sgpr_kernarg_segment_ptr 1
		.amdhsa_user_sgpr_dispatch_id 0
		.amdhsa_user_sgpr_flat_scratch_init 0
		.amdhsa_user_sgpr_kernarg_preload_length 0
		.amdhsa_user_sgpr_kernarg_preload_offset 0
		.amdhsa_user_sgpr_private_segment_size 0
		.amdhsa_uses_dynamic_stack 0
		.amdhsa_system_sgpr_private_segment_wavefront_offset 0
		.amdhsa_system_sgpr_workgroup_id_x 1
		.amdhsa_system_sgpr_workgroup_id_y 0
		.amdhsa_system_sgpr_workgroup_id_z 0
		.amdhsa_system_sgpr_workgroup_info 0
		.amdhsa_system_vgpr_workitem_id 1
		.amdhsa_next_free_vgpr 58
		.amdhsa_next_free_sgpr 16
		.amdhsa_accum_offset 60
		.amdhsa_reserve_vcc 1
		.amdhsa_reserve_flat_scratch 0
		.amdhsa_float_round_mode_32 0
		.amdhsa_float_round_mode_16_64 0
		.amdhsa_float_denorm_mode_32 3
		.amdhsa_float_denorm_mode_16_64 3
		.amdhsa_dx10_clamp 1
		.amdhsa_ieee_mode 1
		.amdhsa_fp16_overflow 0
		.amdhsa_tg_split 0
		.amdhsa_exception_fp_ieee_invalid_op 0
		.amdhsa_exception_fp_denorm_src 0
		.amdhsa_exception_fp_ieee_div_zero 0
		.amdhsa_exception_fp_ieee_overflow 0
		.amdhsa_exception_fp_ieee_underflow 0
		.amdhsa_exception_fp_ieee_inexact 0
		.amdhsa_exception_int_div_zero 0
	.end_amdhsa_kernel
	.text
.Lfunc_end5:
	.size	_Z6Match6PKfS0_PfPi, .Lfunc_end5-_Z6Match6PKfS0_PfPi
                                        ; -- End function
	.section	.AMDGPU.csdata,"",@progbits
; Kernel info:
; codeLenInByte = 1080
; NumSgprs: 20
; NumVgprs: 58
; NumAgprs: 0
; TotalNumVgprs: 58
; ScratchSize: 0
; MemoryBound: 0
; FloatMode: 240
; IeeeMode: 1
; LDSByteSize: 16640 bytes/workgroup (compile time only)
; SGPRBlocks: 2
; VGPRBlocks: 7
; NumSGPRsForWavesPerEU: 20
; NumVGPRsForWavesPerEU: 58
; AccumOffset: 60
; Occupancy: 8
; WaveLimiterHint : 0
; COMPUTE_PGM_RSRC2:SCRATCH_EN: 0
; COMPUTE_PGM_RSRC2:USER_SGPR: 6
; COMPUTE_PGM_RSRC2:TRAP_HANDLER: 0
; COMPUTE_PGM_RSRC2:TGID_X_EN: 1
; COMPUTE_PGM_RSRC2:TGID_Y_EN: 0
; COMPUTE_PGM_RSRC2:TGID_Z_EN: 0
; COMPUTE_PGM_RSRC2:TIDIG_COMP_CNT: 1
; COMPUTE_PGM_RSRC3_GFX90A:ACCUM_OFFSET: 14
; COMPUTE_PGM_RSRC3_GFX90A:TG_SPLIT: 0
	.text
	.protected	_Z6Match7PKfS0_PfPi     ; -- Begin function _Z6Match7PKfS0_PfPi
	.globl	_Z6Match7PKfS0_PfPi
	.p2align	8
	.type	_Z6Match7PKfS0_PfPi,@function
_Z6Match7PKfS0_PfPi:                    ; @_Z6Match7PKfS0_PfPi
; %bb.0:
	v_and_b32_e32 v18, 0x3ff, v0
	v_bfe_u32 v19, v0, 10, 10
	v_or_b32_e32 v0, v18, v19
	v_cmp_gt_u32_e64 s[0:1], 32, v0
	v_cmp_lt_u32_e32 vcc, 31, v0
	v_lshlrev_b32_e32 v0, 5, v19
	s_and_saveexec_b64 s[2:3], vcc
	s_xor_b64 s[2:3], exec, s[2:3]
; %bb.1:
	v_lshlrev_b32_e32 v0, 5, v19
; %bb.2:
	s_or_saveexec_b64 s[12:13], s[2:3]
	s_load_dwordx4 s[8:11], s[4:5], 0x8
	s_load_dwordx2 s[2:3], s[4:5], 0x18
	s_xor_b64 exec, exec, s[12:13]
	s_cbranch_execz .LBB6_6
; %bb.3:
	s_load_dwordx2 s[4:5], s[4:5], 0x0
	v_add_u32_e32 v1, v19, v18
	v_lshl_add_u32 v2, s6, 10, v0
	s_mov_b64 s[14:15], 0
	v_mov_b32_e32 v3, v0
	s_waitcnt lgkmcnt(0)
	v_mov_b32_e32 v4, s5
	v_mov_b32_e32 v5, v19
.LBB6_4:                                ; =>This Inner Loop Header: Depth=1
	v_add_u32_e32 v6, v18, v2
	v_ashrrev_i32_e32 v7, 31, v6
	v_lshlrev_b64 v[6:7], 4, v[6:7]
	v_add_co_u32_e32 v6, vcc, s4, v6
	v_addc_co_u32_e32 v7, vcc, v4, v7, vcc
	global_load_dwordx4 v[6:9], v[6:7], off
	v_and_b32_e32 v10, 31, v1
	v_add_u32_e32 v11, 8, v5
	v_cmp_lt_u32_e32 vcc, 23, v5
	v_add_u16_e32 v1, 8, v1
	v_add_u32_e32 v2, 0x100, v2
	v_add_lshl_u32 v10, v3, v10, 4
	v_add_u32_e32 v3, 0x100, v3
	s_or_b64 s[14:15], vcc, s[14:15]
	v_mov_b32_e32 v5, v11
	s_waitcnt vmcnt(0)
	ds_write_b128 v10, v[6:9]
	s_andn2_b64 exec, exec, s[14:15]
	s_cbranch_execnz .LBB6_4
; %bb.5:
	s_or_b64 exec, exec, s[14:15]
.LBB6_6:
	s_or_b64 exec, exec, s[12:13]
	v_lshlrev_b32_e32 v1, 9, v19
	v_lshlrev_b32_e32 v2, 4, v18
	s_movk_i32 s4, 0x4000
	v_add_u32_e32 v12, v18, v0
	v_mov_b32_e32 v13, 0
	v_add3_u32 v23, v1, v2, s4
	v_lshlrev_b64 v[0:1], 4, v[12:13]
	s_waitcnt lgkmcnt(0)
	v_mov_b32_e32 v2, s9
	v_add_co_u32_e32 v14, vcc, s8, v0
	v_mov_b32_e32 v0, 0x4000
	v_lshlrev_b32_e32 v20, 5, v18
	v_lshlrev_b32_e32 v21, 2, v19
	v_add_u32_e32 v22, -8, v19
	v_addc_co_u32_e32 v15, vcc, v2, v1, vcc
	v_lshl_add_u32 v24, v19, 11, v0
	s_mov_b32 s7, 0
	v_mov_b32_e32 v25, -1
	s_and_saveexec_b64 s[4:5], s[0:1]
	s_cbranch_execz .LBB6_9
.LBB6_7:
	s_mov_b64 s[8:9], 0
	v_pk_mov_b32 v[0:1], v[14:15], v[14:15] op_sel:[0,1]
	v_mov_b32_e32 v2, v23
	v_mov_b32_e32 v3, v22
.LBB6_8:                                ; =>This Inner Loop Header: Depth=1
	global_load_dwordx4 v[4:7], v[0:1], off
	v_add_co_u32_e32 v0, vcc, 0x1000, v0
	v_add_u32_e32 v3, 8, v3
	v_addc_co_u32_e32 v1, vcc, 0, v1, vcc
	v_cmp_lt_u32_e32 vcc, 23, v3
	s_or_b64 s[8:9], vcc, s[8:9]
	s_waitcnt vmcnt(0)
	ds_write_b128 v2, v[4:7]
	v_add_u32_e32 v2, 0x1000, v2
	s_andn2_b64 exec, exec, s[8:9]
	s_cbranch_execnz .LBB6_8
.LBB6_9:                                ; =>This Loop Header: Depth=1
                                        ;     Child Loop BB6_10 Depth 2
	s_or_b64 exec, exec, s[4:5]
	v_mov_b32_e32 v27, 0
	s_mov_b32 s4, 0
	v_mov_b32_e32 v28, v24
	v_mov_b32_e32 v26, 0
	;; [unrolled: 1-line block ×4, first 2 shown]
	s_waitcnt lgkmcnt(0)
	s_barrier
.LBB6_10:                               ;   Parent Loop BB6_9 Depth=1
                                        ; =>  This Inner Loop Header: Depth=2
	v_add_u32_e32 v29, s4, v18
	v_and_or_b32 v50, v29, 31, v20
	v_lshlrev_b32_e32 v50, 4, v50
	ds_read_b128 v[4:7], v28
	ds_read_b128 v[0:3], v28 offset:16
	ds_read_b128 v[8:11], v28 offset:512
	ds_read_b128 v[30:33], v28 offset:528
	ds_read_b128 v[34:37], v28 offset:1024
	ds_read_b128 v[38:41], v28 offset:1040
	ds_read_b128 v[42:45], v28 offset:1536
	ds_read_b128 v[46:49], v28 offset:1552
	ds_read_b128 v[50:53], v50
	v_add_u32_e32 v29, 1, v29
	v_and_or_b32 v29, v29, 31, v20
	v_lshlrev_b32_e32 v29, 4, v29
	ds_read_b128 v[54:57], v29
	s_waitcnt lgkmcnt(1)
	v_fmac_f32_e32 v27, v50, v4
	v_fmac_f32_e32 v26, v50, v8
	v_mul_f32_e32 v4, v50, v34
	v_mul_f32_e32 v8, v51, v35
	v_pk_mul_f32 v[34:35], v[50:51], v[42:43]
	v_fmac_f32_e32 v27, v51, v5
	v_mov_b32_e32 v5, v34
	v_pk_mul_f32 v[44:45], v[52:53], v[44:45]
	v_fmac_f32_e32 v26, v51, v9
	v_mov_b32_e32 v9, v35
	v_pk_add_f32 v[4:5], v[16:17], v[4:5]
	v_mul_f32_e32 v36, v52, v36
	v_mul_f32_e32 v42, v53, v37
	v_mov_b32_e32 v37, v44
	v_fmac_f32_e32 v27, v52, v6
	v_pk_add_f32 v[4:5], v[4:5], v[8:9]
	v_mov_b32_e32 v43, v45
	s_waitcnt lgkmcnt(0)
	v_pk_mul_f32 v[44:45], v[54:55], v[46:47]
	v_fmac_f32_e32 v26, v52, v10
	v_fmac_f32_e32 v27, v53, v7
	v_pk_add_f32 v[4:5], v[4:5], v[36:37]
	v_mul_f32_e32 v34, v54, v38
	v_mov_b32_e32 v35, v44
	v_fmac_f32_e32 v26, v53, v11
	v_fmac_f32_e32 v27, v54, v0
	v_pk_add_f32 v[4:5], v[4:5], v[42:43]
	v_mul_f32_e32 v38, v55, v39
	v_pk_mul_f32 v[48:49], v[56:57], v[48:49]
	v_mov_b32_e32 v39, v45
	v_fmac_f32_e32 v26, v54, v30
	v_fmac_f32_e32 v27, v55, v1
	v_pk_add_f32 v[0:1], v[4:5], v[34:35]
	v_mul_f32_e32 v40, v56, v40
	v_mul_f32_e32 v46, v57, v41
	v_mov_b32_e32 v41, v48
	v_fmac_f32_e32 v26, v55, v31
	v_pk_add_f32 v[0:1], v[0:1], v[38:39]
	s_add_i32 s4, s4, 2
	v_mov_b32_e32 v47, v49
	v_fmac_f32_e32 v27, v56, v2
	v_fmac_f32_e32 v26, v56, v32
	v_pk_add_f32 v[0:1], v[0:1], v[40:41]
	v_add_u32_e32 v28, 32, v28
	s_cmp_eq_u32 s4, 32
	v_fmac_f32_e32 v27, v57, v3
	v_fmac_f32_e32 v26, v57, v33
	v_pk_add_f32 v[16:17], v[0:1], v[46:47]
	s_cbranch_scc0 .LBB6_10
; %bb.11:                               ;   in Loop: Header=BB6_9 Depth=1
	v_cmp_gt_f32_e32 vcc, v27, v13
	v_add_u32_e32 v0, s7, v21
	v_cndmask_b32_e32 v2, v13, v27, vcc
	v_cndmask_b32_e32 v1, v25, v0, vcc
	v_cmp_gt_f32_e32 vcc, v26, v2
	v_or_b32_e32 v3, 1, v0
	v_cndmask_b32_e32 v2, v2, v26, vcc
	v_cndmask_b32_e32 v1, v1, v3, vcc
	v_cmp_gt_f32_e32 vcc, v16, v2
	v_or_b32_e32 v3, 2, v0
	v_cndmask_b32_e32 v2, v2, v16, vcc
	v_cndmask_b32_e32 v1, v1, v3, vcc
	v_or_b32_e32 v0, 3, v0
	v_cmp_gt_f32_e32 vcc, v17, v2
	v_cndmask_b32_e32 v25, v1, v0, vcc
	v_cndmask_b32_e32 v13, v2, v17, vcc
	s_add_i32 s4, s7, 32
	v_add_co_u32_e32 v14, vcc, 0x4000, v14
	s_cmpk_gt_u32 s7, 0x3fdf
	v_addc_co_u32_e32 v15, vcc, 0, v15, vcc
	s_barrier
	s_cbranch_scc1 .LBB6_13
; %bb.12:                               ;   in Loop: Header=BB6_9 Depth=1
	s_mov_b32 s7, s4
	s_and_saveexec_b64 s[4:5], s[0:1]
	s_cbranch_execnz .LBB6_7
	s_branch .LBB6_9
.LBB6_13:
	v_lshlrev_b32_e32 v0, 2, v12
	v_cmp_eq_u32_e32 vcc, 0, v19
	ds_write2st64_b32 v0, v13, v25 offset1:4
	s_waitcnt lgkmcnt(0)
	s_barrier
	s_and_saveexec_b64 s[0:1], vcc
	s_cbranch_execz .LBB6_15
; %bb.14:
	v_lshlrev_b32_e32 v4, 2, v18
	ds_read2_b32 v[0:1], v4 offset1:32
	ds_read2_b32 v[2:3], v4 offset0:64 offset1:96
	v_add_u32_e32 v5, 32, v18
	v_add_u32_e32 v6, 64, v18
	s_waitcnt lgkmcnt(1)
	v_cmp_gt_f32_e32 vcc, v1, v0
	v_cndmask_b32_e32 v0, v0, v1, vcc
	v_cndmask_b32_e32 v5, v18, v5, vcc
	s_waitcnt lgkmcnt(0)
	v_cmp_gt_f32_e32 vcc, v2, v0
	v_cndmask_b32_e32 v2, v0, v2, vcc
	ds_read2_b32 v[0:1], v4 offset0:128 offset1:160
	v_cndmask_b32_e32 v5, v5, v6, vcc
	v_cmp_gt_f32_e32 vcc, v3, v2
	v_add_u32_e32 v6, 0x60, v18
	v_cndmask_b32_e32 v2, v2, v3, vcc
	v_cndmask_b32_e32 v5, v5, v6, vcc
	v_add_u32_e32 v3, 0x80, v18
	s_waitcnt lgkmcnt(0)
	v_cmp_gt_f32_e32 vcc, v0, v2
	v_cndmask_b32_e32 v5, v5, v3, vcc
	v_cndmask_b32_e32 v0, v2, v0, vcc
	ds_read2_b32 v[2:3], v4 offset0:192 offset1:224
	v_cmp_gt_f32_e32 vcc, v1, v0
	v_add_u32_e32 v6, 0xa0, v18
	v_cndmask_b32_e32 v0, v0, v1, vcc
	v_cndmask_b32_e32 v4, v5, v6, vcc
	s_waitcnt lgkmcnt(0)
	v_cmp_gt_f32_e32 vcc, v2, v0
	v_add_u32_e32 v1, 0xc0, v18
	v_cndmask_b32_e32 v0, v0, v2, vcc
	v_cndmask_b32_e32 v1, v4, v1, vcc
	v_add_u32_e32 v2, 0xe0, v18
	v_cmp_gt_f32_e32 vcc, v3, v0
	v_cndmask_b32_e32 v1, v1, v2, vcc
	v_cndmask_b32_e32 v4, v0, v3, vcc
	v_lshlrev_b32_e32 v0, 2, v1
	ds_read_b32 v5, v0 offset:1024
	v_lshl_add_u32 v0, s6, 5, v18
	v_ashrrev_i32_e32 v1, 31, v0
	v_lshlrev_b64 v[0:1], 2, v[0:1]
	v_mov_b32_e32 v3, s11
	v_add_co_u32_e32 v2, vcc, s10, v0
	v_addc_co_u32_e32 v3, vcc, v3, v1, vcc
	global_store_dword v[2:3], v4, off
	v_mov_b32_e32 v2, s3
	v_add_co_u32_e32 v0, vcc, s2, v0
	v_addc_co_u32_e32 v1, vcc, v2, v1, vcc
	s_waitcnt lgkmcnt(0)
	global_store_dword v[0:1], v5, off
.LBB6_15:
	s_endpgm
	.section	.rodata,"a",@progbits
	.p2align	6, 0x0
	.amdhsa_kernel _Z6Match7PKfS0_PfPi
		.amdhsa_group_segment_fixed_size 32768
		.amdhsa_private_segment_fixed_size 0
		.amdhsa_kernarg_size 32
		.amdhsa_user_sgpr_count 6
		.amdhsa_user_sgpr_private_segment_buffer 1
		.amdhsa_user_sgpr_dispatch_ptr 0
		.amdhsa_user_sgpr_queue_ptr 0
		.amdhsa_user_sgpr_kernarg_segment_ptr 1
		.amdhsa_user_sgpr_dispatch_id 0
		.amdhsa_user_sgpr_flat_scratch_init 0
		.amdhsa_user_sgpr_kernarg_preload_length 0
		.amdhsa_user_sgpr_kernarg_preload_offset 0
		.amdhsa_user_sgpr_private_segment_size 0
		.amdhsa_uses_dynamic_stack 0
		.amdhsa_system_sgpr_private_segment_wavefront_offset 0
		.amdhsa_system_sgpr_workgroup_id_x 1
		.amdhsa_system_sgpr_workgroup_id_y 0
		.amdhsa_system_sgpr_workgroup_id_z 0
		.amdhsa_system_sgpr_workgroup_info 0
		.amdhsa_system_vgpr_workitem_id 1
		.amdhsa_next_free_vgpr 58
		.amdhsa_next_free_sgpr 16
		.amdhsa_accum_offset 60
		.amdhsa_reserve_vcc 1
		.amdhsa_reserve_flat_scratch 0
		.amdhsa_float_round_mode_32 0
		.amdhsa_float_round_mode_16_64 0
		.amdhsa_float_denorm_mode_32 3
		.amdhsa_float_denorm_mode_16_64 3
		.amdhsa_dx10_clamp 1
		.amdhsa_ieee_mode 1
		.amdhsa_fp16_overflow 0
		.amdhsa_tg_split 0
		.amdhsa_exception_fp_ieee_invalid_op 0
		.amdhsa_exception_fp_denorm_src 0
		.amdhsa_exception_fp_ieee_div_zero 0
		.amdhsa_exception_fp_ieee_overflow 0
		.amdhsa_exception_fp_ieee_underflow 0
		.amdhsa_exception_fp_ieee_inexact 0
		.amdhsa_exception_int_div_zero 0
	.end_amdhsa_kernel
	.text
.Lfunc_end6:
	.size	_Z6Match7PKfS0_PfPi, .Lfunc_end6-_Z6Match7PKfS0_PfPi
                                        ; -- End function
	.section	.AMDGPU.csdata,"",@progbits
; Kernel info:
; codeLenInByte = 1200
; NumSgprs: 20
; NumVgprs: 58
; NumAgprs: 0
; TotalNumVgprs: 58
; ScratchSize: 0
; MemoryBound: 0
; FloatMode: 240
; IeeeMode: 1
; LDSByteSize: 32768 bytes/workgroup (compile time only)
; SGPRBlocks: 2
; VGPRBlocks: 7
; NumSGPRsForWavesPerEU: 20
; NumVGPRsForWavesPerEU: 58
; AccumOffset: 60
; Occupancy: 8
; WaveLimiterHint : 0
; COMPUTE_PGM_RSRC2:SCRATCH_EN: 0
; COMPUTE_PGM_RSRC2:USER_SGPR: 6
; COMPUTE_PGM_RSRC2:TRAP_HANDLER: 0
; COMPUTE_PGM_RSRC2:TGID_X_EN: 1
; COMPUTE_PGM_RSRC2:TGID_Y_EN: 0
; COMPUTE_PGM_RSRC2:TGID_Z_EN: 0
; COMPUTE_PGM_RSRC2:TIDIG_COMP_CNT: 1
; COMPUTE_PGM_RSRC3_GFX90A:ACCUM_OFFSET: 14
; COMPUTE_PGM_RSRC3_GFX90A:TG_SPLIT: 0
	.text
	.protected	_Z6Match8PKfS0_PfPi     ; -- Begin function _Z6Match8PKfS0_PfPi
	.globl	_Z6Match8PKfS0_PfPi
	.p2align	8
	.type	_Z6Match8PKfS0_PfPi,@function
_Z6Match8PKfS0_PfPi:                    ; @_Z6Match8PKfS0_PfPi
; %bb.0:
	v_and_b32_e32 v8, 0x3ff, v0
	v_bfe_u32 v9, v0, 10, 10
	v_or_b32_e32 v0, v8, v9
	v_cmp_gt_u32_e64 s[0:1], 32, v0
	v_cmp_lt_u32_e32 vcc, 31, v0
	v_lshlrev_b32_e32 v0, 5, v9
	s_and_saveexec_b64 s[2:3], vcc
	s_xor_b64 s[2:3], exec, s[2:3]
; %bb.1:
	v_lshlrev_b32_e32 v0, 5, v9
; %bb.2:
	s_or_saveexec_b64 s[2:3], s[2:3]
	s_load_dwordx4 s[8:11], s[4:5], 0x8
	s_load_dwordx2 s[12:13], s[4:5], 0x18
	s_xor_b64 exec, exec, s[2:3]
	s_cbranch_execz .LBB7_6
; %bb.3:
	s_load_dwordx2 s[4:5], s[4:5], 0x0
	v_add_u32_e32 v1, v9, v8
	v_lshl_add_u32 v2, s6, 10, v0
	s_mov_b64 s[14:15], 0
	v_mov_b32_e32 v3, v0
	s_waitcnt lgkmcnt(0)
	v_mov_b32_e32 v4, s5
	v_mov_b32_e32 v5, v9
.LBB7_4:                                ; =>This Inner Loop Header: Depth=1
	v_add_u32_e32 v6, v8, v2
	v_ashrrev_i32_e32 v7, 31, v6
	v_lshlrev_b64 v[6:7], 4, v[6:7]
	v_add_co_u32_e32 v6, vcc, s4, v6
	v_addc_co_u32_e32 v7, vcc, v4, v7, vcc
	global_load_dwordx4 v[10:13], v[6:7], off
	v_and_b32_e32 v6, 31, v1
	v_add_u32_e32 v7, 8, v5
	v_cmp_lt_u32_e32 vcc, 23, v5
	v_add_u16_e32 v1, 8, v1
	v_add_u32_e32 v2, 0x100, v2
	v_add_lshl_u32 v6, v3, v6, 4
	v_add_u32_e32 v3, 0x100, v3
	s_or_b64 s[14:15], vcc, s[14:15]
	v_mov_b32_e32 v5, v7
	s_waitcnt vmcnt(0)
	ds_write_b128 v6, v[10:13]
	s_andn2_b64 exec, exec, s[14:15]
	s_cbranch_execnz .LBB7_4
; %bb.5:
	s_or_b64 exec, exec, s[14:15]
.LBB7_6:
	s_or_b64 exec, exec, s[2:3]
	v_lshlrev_b32_e32 v1, 9, v9
	v_lshlrev_b32_e32 v2, 4, v8
	s_movk_i32 s4, 0x4000
	v_add_u32_e32 v0, v0, v8
	s_movk_i32 s2, 0x80
	v_add3_u32 v16, v1, v2, s4
	v_mov_b32_e32 v1, 0
	v_lshrrev_b32_e32 v11, 4, v0
	v_cmp_gt_u32_e64 s[2:3], s2, v0
	v_lshlrev_b64 v[0:1], 4, v[0:1]
	v_and_b32_e32 v10, 15, v8
	s_waitcnt lgkmcnt(0)
	v_mov_b32_e32 v2, s9
	v_add_co_u32_e32 v0, vcc, s8, v0
	s_mov_b32 s8, -1
	s_mov_b32 s4, 0
	v_lshlrev_b32_e32 v13, 5, v10
	v_addc_co_u32_e32 v1, vcc, v2, v1, vcc
	v_mov_b32_e32 v2, 0x4000
	s_mov_b32 s9, s8
	s_mov_b32 s5, s4
	v_lshlrev_b32_e32 v12, 2, v11
	v_or_b32_e32 v14, 0x200, v13
	v_add_u32_e32 v15, -8, v9
	v_lshl_add_u32 v17, v11, 11, v2
	v_pk_mov_b32 v[4:5], s[4:5], s[4:5] op_sel:[0,1]
	v_pk_mov_b32 v[2:3], s[8:9], s[8:9] op_sel:[0,1]
	s_and_saveexec_b64 s[8:9], s[0:1]
	s_cbranch_execz .LBB7_9
.LBB7_7:
	s_mov_b64 s[14:15], 0
	v_pk_mov_b32 v[6:7], v[0:1], v[0:1] op_sel:[0,1]
	v_mov_b32_e32 v18, v16
	v_mov_b32_e32 v19, v15
.LBB7_8:                                ; =>This Inner Loop Header: Depth=1
	global_load_dwordx4 v[20:23], v[6:7], off
	v_add_co_u32_e32 v6, vcc, 0x1000, v6
	v_add_u32_e32 v19, 8, v19
	v_addc_co_u32_e32 v7, vcc, 0, v7, vcc
	v_cmp_lt_u32_e32 vcc, 23, v19
	s_or_b64 s[14:15], vcc, s[14:15]
	s_waitcnt vmcnt(0)
	ds_write_b128 v18, v[20:23]
	v_add_u32_e32 v18, 0x1000, v18
	s_andn2_b64 exec, exec, s[14:15]
	s_cbranch_execnz .LBB7_8
.LBB7_9:                                ; =>This Loop Header: Depth=1
                                        ;     Child Loop BB7_11 Depth 2
	s_or_b64 exec, exec, s[8:9]
	s_waitcnt lgkmcnt(0)
	s_barrier
	s_and_saveexec_b64 s[8:9], s[2:3]
	s_cbranch_execz .LBB7_13
; %bb.10:                               ;   in Loop: Header=BB7_9 Depth=1
	s_mov_b32 s5, 0
	v_mov_b32_e32 v23, 0
	v_mov_b32_e32 v22, v10
	;; [unrolled: 1-line block ×9, first 2 shown]
.LBB7_11:                               ;   Parent Loop BB7_9 Depth=1
                                        ; =>  This Inner Loop Header: Depth=2
	v_and_b32_e32 v25, 31, v22
	v_or_b32_e32 v42, v25, v13
	v_or_b32_e32 v25, v25, v14
	v_add_u32_e32 v38, s5, v17
	v_lshlrev_b32_e32 v42, 4, v42
	v_xor_b32_e32 v25, 16, v25
	ds_read_b128 v[26:29], v38
	ds_read_b128 v[30:33], v38 offset:512
	ds_read_b128 v[34:37], v38 offset:1024
	;; [unrolled: 1-line block ×3, first 2 shown]
	v_lshlrev_b32_e32 v25, 4, v25
	ds_read_b128 v[42:45], v42
	ds_read_b128 v[46:49], v25
	s_waitcnt lgkmcnt(5)
	v_mov_b32_e32 v50, v27
	v_mov_b32_e32 v51, v28
	s_waitcnt lgkmcnt(4)
	v_mov_b32_e32 v52, v31
	v_mov_b32_e32 v53, v32
	;; [unrolled: 3-line block ×3, first 2 shown]
	v_fmac_f32_e32 v19, v34, v42
	v_fmac_f32_e32 v7, v38, v42
	s_waitcnt lgkmcnt(0)
	v_mov_b32_e32 v56, v47
	v_mov_b32_e32 v57, v48
	v_fmac_f32_e32 v23, v26, v42
	v_fmac_f32_e32 v21, v30, v42
	v_pk_mul_f32 v[58:59], v[50:51], v[54:55]
	v_fmac_f32_e32 v24, v26, v46
	v_fmac_f32_e32 v20, v30, v46
	v_pk_mul_f32 v[26:27], v[52:53], v[54:55]
	v_fmac_f32_e32 v19, v35, v43
	v_fmac_f32_e32 v18, v34, v46
	;; [unrolled: 1-line block ×4, first 2 shown]
	v_pk_mul_f32 v[30:31], v[50:51], v[56:57]
	v_pk_mul_f32 v[42:43], v[52:53], v[56:57]
	v_add_f32_e32 v23, v23, v58
	v_add_f32_e32 v21, v21, v26
	v_fmac_f32_e32 v18, v35, v47
	v_fmac_f32_e32 v6, v39, v47
	v_add_f32_e32 v24, v24, v30
	v_add_f32_e32 v20, v20, v42
	s_add_i32 s5, s5, 16
	v_fmac_f32_e32 v19, v36, v44
	v_fmac_f32_e32 v7, v40, v44
	v_add_f32_e32 v23, v23, v59
	v_add_f32_e32 v21, v21, v27
	v_fmac_f32_e32 v18, v36, v48
	v_fmac_f32_e32 v6, v40, v48
	v_add_f32_e32 v24, v24, v31
	v_add_f32_e32 v20, v20, v43
	v_add_u32_e32 v22, 1, v22
	s_cmpk_eq_i32 s5, 0x200
	v_fmac_f32_e32 v19, v37, v45
	v_fmac_f32_e32 v7, v41, v45
	;; [unrolled: 1-line block ×8, first 2 shown]
	s_cbranch_scc0 .LBB7_11
; %bb.12:                               ;   in Loop: Header=BB7_9 Depth=1
	v_cmp_gt_f32_e32 vcc, v23, v4
	v_or_b32_e32 v22, s4, v12
	v_cndmask_b32_e32 v5, v5, v5, vcc
	v_cndmask_b32_e32 v2, v2, v22, vcc
	;; [unrolled: 1-line block ×3, first 2 shown]
	v_cmp_gt_f32_e32 vcc, v24, v5
	v_cndmask_b32_e32 v3, v3, v22, vcc
	v_cndmask_b32_e32 v5, v5, v24, vcc
	v_or_b32_e32 v23, 1, v22
	v_cmp_gt_f32_e32 vcc, v21, v4
	v_cndmask_b32_e32 v2, v2, v23, vcc
	v_cndmask_b32_e32 v4, v4, v21, vcc
	v_cmp_gt_f32_e32 vcc, v20, v5
	v_cndmask_b32_e32 v3, v3, v23, vcc
	v_cndmask_b32_e32 v5, v5, v20, vcc
	v_or_b32_e32 v20, 2, v22
	v_cmp_gt_f32_e32 vcc, v19, v4
	v_cndmask_b32_e32 v2, v2, v20, vcc
	v_cndmask_b32_e32 v4, v4, v19, vcc
	;; [unrolled: 7-line block ×3, first 2 shown]
	v_cmp_gt_f32_e32 vcc, v6, v5
	v_cndmask_b32_e32 v3, v3, v18, vcc
	v_cndmask_b32_e32 v5, v5, v6, vcc
.LBB7_13:                               ;   in Loop: Header=BB7_9 Depth=1
	s_or_b64 exec, exec, s[8:9]
	s_add_i32 s5, s4, 32
	v_add_co_u32_e32 v0, vcc, 0x4000, v0
	s_cmpk_gt_u32 s4, 0x3fdf
	v_addc_co_u32_e32 v1, vcc, 0, v1, vcc
	s_barrier
	s_cbranch_scc1 .LBB7_15
; %bb.14:                               ;   in Loop: Header=BB7_9 Depth=1
	s_mov_b32 s4, s5
	s_and_saveexec_b64 s[8:9], s[0:1]
	s_cbranch_execnz .LBB7_7
	s_branch .LBB7_9
.LBB7_15:
	s_and_saveexec_b64 s[0:1], s[2:3]
	s_cbranch_execz .LBB7_17
; %bb.16:
	v_lshlrev_b32_e32 v0, 2, v10
	v_lshl_or_b32 v0, v11, 7, v0
	ds_write2_b32 v0, v4, v5 offset1:16
	v_add_u32_e32 v0, 0x400, v0
	ds_write2_b32 v0, v2, v3 offset1:16
.LBB7_17:
	s_or_b64 exec, exec, s[0:1]
	v_cmp_eq_u32_e32 vcc, 0, v9
	s_waitcnt lgkmcnt(0)
	s_barrier
	s_and_saveexec_b64 s[0:1], vcc
	s_cbranch_execz .LBB7_19
; %bb.18:
	v_lshlrev_b32_e32 v4, 2, v8
	ds_read2_b32 v[0:1], v4 offset1:32
	ds_read2_b32 v[2:3], v4 offset0:64 offset1:96
	v_add_u32_e32 v5, 32, v8
	v_add_u32_e32 v6, 64, v8
	s_waitcnt lgkmcnt(1)
	v_cmp_gt_f32_e32 vcc, v1, v0
	v_cndmask_b32_e32 v0, v0, v1, vcc
	v_cndmask_b32_e32 v1, v8, v5, vcc
	s_waitcnt lgkmcnt(0)
	v_cmp_gt_f32_e32 vcc, v2, v0
	v_cndmask_b32_e32 v2, v0, v2, vcc
	v_cndmask_b32_e32 v5, v1, v6, vcc
	ds_read2_b32 v[0:1], v4 offset0:128 offset1:160
	v_cmp_gt_f32_e32 vcc, v3, v2
	v_add_u32_e32 v6, 0x60, v8
	v_cndmask_b32_e32 v2, v2, v3, vcc
	v_cndmask_b32_e32 v3, v5, v6, vcc
	v_add_u32_e32 v5, 0x80, v8
	s_waitcnt lgkmcnt(0)
	v_cmp_gt_f32_e32 vcc, v0, v2
	v_cndmask_b32_e32 v0, v2, v0, vcc
	v_cndmask_b32_e32 v5, v3, v5, vcc
	ds_read2_b32 v[2:3], v4 offset0:192 offset1:224
	v_cmp_gt_f32_e32 vcc, v1, v0
	v_add_u32_e32 v6, 0xa0, v8
	v_cndmask_b32_e32 v0, v0, v1, vcc
	v_cndmask_b32_e32 v1, v5, v6, vcc
	s_waitcnt lgkmcnt(0)
	v_cmp_gt_f32_e32 vcc, v2, v0
	v_add_u32_e32 v4, 0xc0, v8
	v_cndmask_b32_e32 v0, v0, v2, vcc
	v_cndmask_b32_e32 v1, v1, v4, vcc
	v_add_u32_e32 v2, 0xe0, v8
	v_cmp_gt_f32_e32 vcc, v3, v0
	v_cndmask_b32_e32 v4, v0, v3, vcc
	v_cndmask_b32_e32 v0, v1, v2, vcc
	v_lshlrev_b32_e32 v0, 2, v0
	ds_read_b32 v5, v0 offset:1024
	v_lshl_add_u32 v0, s6, 5, v8
	v_ashrrev_i32_e32 v1, 31, v0
	v_lshlrev_b64 v[0:1], 2, v[0:1]
	v_mov_b32_e32 v3, s11
	v_add_co_u32_e32 v2, vcc, s10, v0
	v_addc_co_u32_e32 v3, vcc, v3, v1, vcc
	global_store_dword v[2:3], v4, off
	v_mov_b32_e32 v2, s13
	v_add_co_u32_e32 v0, vcc, s12, v0
	v_addc_co_u32_e32 v1, vcc, v2, v1, vcc
	s_waitcnt lgkmcnt(0)
	global_store_dword v[0:1], v5, off
.LBB7_19:
	s_endpgm
	.section	.rodata,"a",@progbits
	.p2align	6, 0x0
	.amdhsa_kernel _Z6Match8PKfS0_PfPi
		.amdhsa_group_segment_fixed_size 32768
		.amdhsa_private_segment_fixed_size 0
		.amdhsa_kernarg_size 32
		.amdhsa_user_sgpr_count 6
		.amdhsa_user_sgpr_private_segment_buffer 1
		.amdhsa_user_sgpr_dispatch_ptr 0
		.amdhsa_user_sgpr_queue_ptr 0
		.amdhsa_user_sgpr_kernarg_segment_ptr 1
		.amdhsa_user_sgpr_dispatch_id 0
		.amdhsa_user_sgpr_flat_scratch_init 0
		.amdhsa_user_sgpr_kernarg_preload_length 0
		.amdhsa_user_sgpr_kernarg_preload_offset 0
		.amdhsa_user_sgpr_private_segment_size 0
		.amdhsa_uses_dynamic_stack 0
		.amdhsa_system_sgpr_private_segment_wavefront_offset 0
		.amdhsa_system_sgpr_workgroup_id_x 1
		.amdhsa_system_sgpr_workgroup_id_y 0
		.amdhsa_system_sgpr_workgroup_id_z 0
		.amdhsa_system_sgpr_workgroup_info 0
		.amdhsa_system_vgpr_workitem_id 1
		.amdhsa_next_free_vgpr 60
		.amdhsa_next_free_sgpr 16
		.amdhsa_accum_offset 60
		.amdhsa_reserve_vcc 1
		.amdhsa_reserve_flat_scratch 0
		.amdhsa_float_round_mode_32 0
		.amdhsa_float_round_mode_16_64 0
		.amdhsa_float_denorm_mode_32 3
		.amdhsa_float_denorm_mode_16_64 3
		.amdhsa_dx10_clamp 1
		.amdhsa_ieee_mode 1
		.amdhsa_fp16_overflow 0
		.amdhsa_tg_split 0
		.amdhsa_exception_fp_ieee_invalid_op 0
		.amdhsa_exception_fp_denorm_src 0
		.amdhsa_exception_fp_ieee_div_zero 0
		.amdhsa_exception_fp_ieee_overflow 0
		.amdhsa_exception_fp_ieee_underflow 0
		.amdhsa_exception_fp_ieee_inexact 0
		.amdhsa_exception_int_div_zero 0
	.end_amdhsa_kernel
	.text
.Lfunc_end7:
	.size	_Z6Match8PKfS0_PfPi, .Lfunc_end7-_Z6Match8PKfS0_PfPi
                                        ; -- End function
	.section	.AMDGPU.csdata,"",@progbits
; Kernel info:
; codeLenInByte = 1308
; NumSgprs: 20
; NumVgprs: 60
; NumAgprs: 0
; TotalNumVgprs: 60
; ScratchSize: 0
; MemoryBound: 0
; FloatMode: 240
; IeeeMode: 1
; LDSByteSize: 32768 bytes/workgroup (compile time only)
; SGPRBlocks: 2
; VGPRBlocks: 7
; NumSGPRsForWavesPerEU: 20
; NumVGPRsForWavesPerEU: 60
; AccumOffset: 60
; Occupancy: 8
; WaveLimiterHint : 0
; COMPUTE_PGM_RSRC2:SCRATCH_EN: 0
; COMPUTE_PGM_RSRC2:USER_SGPR: 6
; COMPUTE_PGM_RSRC2:TRAP_HANDLER: 0
; COMPUTE_PGM_RSRC2:TGID_X_EN: 1
; COMPUTE_PGM_RSRC2:TGID_Y_EN: 0
; COMPUTE_PGM_RSRC2:TGID_Z_EN: 0
; COMPUTE_PGM_RSRC2:TIDIG_COMP_CNT: 1
; COMPUTE_PGM_RSRC3_GFX90A:ACCUM_OFFSET: 14
; COMPUTE_PGM_RSRC3_GFX90A:TG_SPLIT: 0
	.text
	.protected	_Z6Match9PKfS0_PfPi     ; -- Begin function _Z6Match9PKfS0_PfPi
	.globl	_Z6Match9PKfS0_PfPi
	.p2align	8
	.type	_Z6Match9PKfS0_PfPi,@function
_Z6Match9PKfS0_PfPi:                    ; @_Z6Match9PKfS0_PfPi
; %bb.0:
	v_and_b32_e32 v2, 0x3ff, v0
	v_bfe_u32 v3, v0, 10, 10
	v_or_b32_e32 v0, v2, v3
	v_cmp_gt_u32_e32 vcc, 32, v0
	v_cmp_lt_u32_e64 s[0:1], 31, v0
	v_lshlrev_b32_e32 v0, 5, v3
	s_and_saveexec_b64 s[2:3], s[0:1]
	s_xor_b64 s[0:1], exec, s[2:3]
; %bb.1:
	v_lshlrev_b32_e32 v0, 5, v3
; %bb.2:
	s_or_saveexec_b64 s[2:3], s[0:1]
	s_load_dwordx4 s[16:19], s[4:5], 0x8
	s_load_dwordx2 s[20:21], s[4:5], 0x18
	s_lshl_b32 s26, s6, 5
	s_xor_b64 exec, exec, s[2:3]
	s_cbranch_execz .LBB8_18
; %bb.3:
	s_load_dwordx2 s[6:7], s[4:5], 0x0
	v_or_b32_e32 v1, s26, v3
	v_lshl_or_b32 v4, v1, 5, v2
	v_ashrrev_i32_e32 v5, 31, v4
	v_lshlrev_b64 v[4:5], 4, v[4:5]
	s_waitcnt lgkmcnt(0)
	v_mov_b32_e32 v1, s7
	v_add_co_u32_e64 v4, s[0:1], s6, v4
	v_addc_co_u32_e64 v5, s[0:1], v1, v5, s[0:1]
	global_load_dwordx4 v[4:7], v[4:5], off
	v_add_u32_e32 v1, v3, v2
	v_and_or_b32 v1, v1, 31, v0
	v_lshlrev_b32_e32 v1, 4, v1
	v_cmp_gt_u32_e64 s[0:1], 28, v3
	s_waitcnt vmcnt(0)
	ds_write_b128 v1, v[4:7]
	s_and_saveexec_b64 s[4:5], s[0:1]
	s_xor_b64 s[4:5], exec, s[4:5]
	s_cbranch_execz .LBB8_17
; %bb.4:
	v_add_u32_e32 v1, 4, v3
	v_add_u32_e32 v4, s26, v1
	v_lshl_or_b32 v4, v4, 5, v2
	v_ashrrev_i32_e32 v5, 31, v4
	v_lshlrev_b64 v[4:5], 4, v[4:5]
	v_mov_b32_e32 v6, s7
	v_add_co_u32_e64 v4, s[0:1], s6, v4
	v_addc_co_u32_e64 v5, s[0:1], v6, v5, s[0:1]
	global_load_dwordx4 v[4:7], v[4:5], off
	v_add_u32_e32 v8, v1, v2
	v_and_b32_e32 v8, 31, v8
	v_lshlrev_b32_e32 v8, 4, v8
	v_lshl_or_b32 v1, v1, 9, v8
	v_cmp_gt_u32_e64 s[0:1], 24, v3
	s_waitcnt vmcnt(0)
	ds_write_b128 v1, v[4:7]
	s_and_saveexec_b64 s[8:9], s[0:1]
	s_xor_b64 s[8:9], exec, s[8:9]
	s_cbranch_execz .LBB8_16
; %bb.5:
	v_add_u32_e32 v1, 8, v3
	v_add_u32_e32 v4, s26, v1
	v_lshl_or_b32 v4, v4, 5, v2
	v_ashrrev_i32_e32 v5, 31, v4
	v_lshlrev_b64 v[4:5], 4, v[4:5]
	v_mov_b32_e32 v6, s7
	v_add_co_u32_e64 v4, s[0:1], s6, v4
	v_addc_co_u32_e64 v5, s[0:1], v6, v5, s[0:1]
	global_load_dwordx4 v[4:7], v[4:5], off
	v_add_u32_e32 v8, v1, v2
	v_and_b32_e32 v8, 31, v8
	v_lshlrev_b32_e32 v8, 4, v8
	v_lshl_or_b32 v1, v1, 9, v8
	;; [unrolled: 20-line block ×3, first 2 shown]
	v_cmp_gt_u32_e64 s[0:1], 16, v3
	s_waitcnt vmcnt(0)
	ds_write_b128 v1, v[4:7]
	s_and_saveexec_b64 s[12:13], s[0:1]
	s_xor_b64 s[12:13], exec, s[12:13]
	s_cbranch_execz .LBB8_14
; %bb.7:
	v_or_b32_e32 v1, 16, v3
	v_or_b32_e32 v4, s26, v1
	v_lshl_or_b32 v4, v4, 5, v2
	v_ashrrev_i32_e32 v5, 31, v4
	v_lshlrev_b64 v[4:5], 4, v[4:5]
	v_mov_b32_e32 v6, s7
	v_add_co_u32_e64 v4, s[0:1], s6, v4
	v_addc_co_u32_e64 v5, s[0:1], v6, v5, s[0:1]
	global_load_dwordx4 v[4:7], v[4:5], off
	v_add_u32_e32 v8, v1, v2
	v_and_b32_e32 v8, 31, v8
	v_lshlrev_b32_e32 v8, 4, v8
	v_lshl_or_b32 v8, v1, 9, v8
	v_cmp_gt_u32_e64 s[0:1], 28, v1
	s_waitcnt vmcnt(0)
	ds_write_b128 v8, v[4:7]
	s_and_saveexec_b64 s[14:15], s[0:1]
	s_xor_b64 s[14:15], exec, s[14:15]
	s_cbranch_execz .LBB8_13
; %bb.8:
	v_add_u32_e32 v1, 20, v3
	v_add_u32_e32 v4, s26, v1
	v_lshl_or_b32 v4, v4, 5, v2
	v_ashrrev_i32_e32 v5, 31, v4
	v_lshlrev_b64 v[4:5], 4, v[4:5]
	v_mov_b32_e32 v6, s7
	v_add_co_u32_e64 v4, s[0:1], s6, v4
	v_addc_co_u32_e64 v5, s[0:1], v6, v5, s[0:1]
	global_load_dwordx4 v[4:7], v[4:5], off
	v_add_u32_e32 v8, v1, v2
	v_and_b32_e32 v8, 31, v8
	v_lshlrev_b32_e32 v8, 4, v8
	v_lshl_or_b32 v1, v1, 9, v8
	v_cmp_gt_u32_e64 s[0:1], 8, v3
	s_waitcnt vmcnt(0)
	ds_write_b128 v1, v[4:7]
	s_and_saveexec_b64 s[22:23], s[0:1]
	s_xor_b64 s[22:23], exec, s[22:23]
	s_cbranch_execz .LBB8_12
; %bb.9:
	v_or_b32_e32 v1, 24, v3
	v_or_b32_e32 v4, s26, v1
	v_lshl_or_b32 v4, v4, 5, v2
	v_ashrrev_i32_e32 v5, 31, v4
	v_lshlrev_b64 v[4:5], 4, v[4:5]
	v_mov_b32_e32 v6, s7
	v_add_co_u32_e64 v4, s[0:1], s6, v4
	v_addc_co_u32_e64 v5, s[0:1], v6, v5, s[0:1]
	global_load_dwordx4 v[4:7], v[4:5], off
	v_add_u32_e32 v8, v1, v2
	v_and_b32_e32 v8, 31, v8
	v_lshlrev_b32_e32 v8, 4, v8
	v_lshl_or_b32 v8, v1, 9, v8
	v_cmp_gt_u32_e64 s[0:1], 28, v1
	s_waitcnt vmcnt(0)
	ds_write_b128 v8, v[4:7]
	s_and_saveexec_b64 s[24:25], s[0:1]
	s_xor_b64 s[24:25], exec, s[24:25]
	s_cbranch_execz .LBB8_11
; %bb.10:
	v_add_u32_e32 v1, 28, v3
	v_add_u32_e32 v4, s26, v1
	v_lshl_or_b32 v4, v4, 5, v2
	v_ashrrev_i32_e32 v5, 31, v4
	v_lshlrev_b64 v[4:5], 4, v[4:5]
	v_mov_b32_e32 v6, s7
	v_add_co_u32_e64 v4, s[0:1], s6, v4
	v_addc_co_u32_e64 v5, s[0:1], v6, v5, s[0:1]
	global_load_dwordx4 v[4:7], v[4:5], off
	v_add_u32_e32 v8, v1, v2
	v_and_b32_e32 v8, 31, v8
	v_lshlrev_b32_e32 v8, 4, v8
	v_lshl_or_b32 v1, v1, 9, v8
	s_waitcnt vmcnt(0)
	ds_write_b128 v1, v[4:7]
.LBB8_11:
	s_or_b64 exec, exec, s[24:25]
.LBB8_12:
	s_or_b64 exec, exec, s[22:23]
.LBB8_13:
	s_or_b64 exec, exec, s[14:15]
.LBB8_14:
	s_or_b64 exec, exec, s[12:13]
.LBB8_15:
	s_or_b64 exec, exec, s[10:11]
.LBB8_16:
	s_or_b64 exec, exec, s[8:9]
.LBB8_17:
	s_or_b64 exec, exec, s[4:5]
.LBB8_18:
	s_or_b64 exec, exec, s[2:3]
	v_add_u32_e32 v6, v0, v2
	v_or_b32_e32 v0, v0, v2
	v_mov_b32_e32 v1, 0x4000
	v_and_b32_e32 v4, 15, v2
	v_lshl_add_u32 v10, v0, 4, v1
	v_add_u32_e32 v11, 4, v3
	v_lshlrev_b32_e32 v0, 4, v2
	v_add_u32_e32 v13, 8, v3
	v_add_u32_e32 v15, 12, v3
	v_or_b32_e32 v17, 16, v3
	v_add_u32_e32 v19, 20, v3
	v_or_b32_e32 v21, 24, v3
	v_add_u32_e32 v23, 28, v3
	v_lshrrev_b32_e32 v5, 4, v6
	v_lshlrev_b32_e32 v8, 5, v4
	v_lshl_or_b32 v12, v11, 9, v0
	v_lshl_or_b32 v14, v13, 9, v0
	;; [unrolled: 1-line block ×7, first 2 shown]
	v_lshlrev_b32_e32 v7, 2, v5
	v_or_b32_e32 v9, 0x200, v8
	v_cmp_gt_u32_e64 s[0:1], 28, v3
	v_add_u32_e32 v12, 0x4000, v12
	v_cmp_gt_u32_e64 s[2:3], 24, v3
	v_add_u32_e32 v14, 0x4000, v14
	;; [unrolled: 2-line block ×7, first 2 shown]
	v_lshl_add_u32 v25, v5, 11, v1
	s_mov_b32 s24, 0
	v_mov_b32_e32 v27, 0
	v_mov_b32_e32 v26, -1
	v_mov_b32_e32 v1, 0
	v_mov_b32_e32 v28, 0
	v_mov_b32_e32 v29, -1
	s_and_saveexec_b64 s[22:23], vcc
	s_cbranch_execz .LBB8_27
.LBB8_19:
	v_or_b32_e32 v0, s24, v3
	v_lshl_or_b32 v0, v0, 5, v2
	v_lshlrev_b64 v[30:31], 4, v[0:1]
	s_waitcnt lgkmcnt(0)
	v_mov_b32_e32 v0, s17
	v_add_co_u32_e64 v30, s[14:15], s16, v30
	v_addc_co_u32_e64 v31, s[14:15], v0, v31, s[14:15]
	global_load_dwordx4 v[30:33], v[30:31], off
	s_waitcnt vmcnt(0)
	ds_write_b128 v10, v[30:33]
	s_and_saveexec_b64 s[14:15], s[0:1]
	s_xor_b64 s[14:15], exec, s[14:15]
	s_cbranch_execz .LBB8_27
; %bb.20:
	v_add_u32_e32 v0, s24, v11
	v_lshl_or_b32 v0, v0, 5, v2
	v_lshlrev_b64 v[30:31], 4, v[0:1]
	v_mov_b32_e32 v0, s17
	v_add_co_u32_e64 v30, s[14:15], s16, v30
	v_addc_co_u32_e64 v31, s[14:15], v0, v31, s[14:15]
	global_load_dwordx4 v[30:33], v[30:31], off
	s_waitcnt vmcnt(0)
	ds_write_b128 v12, v[30:33]
	s_and_saveexec_b64 s[14:15], s[2:3]
	s_xor_b64 s[14:15], exec, s[14:15]
	s_cbranch_execz .LBB8_27
; %bb.21:
	v_add_u32_e32 v0, s24, v13
	v_lshl_or_b32 v0, v0, 5, v2
	v_lshlrev_b64 v[30:31], 4, v[0:1]
	;; [unrolled: 13-line block ×3, first 2 shown]
	v_mov_b32_e32 v0, s17
	v_add_co_u32_e64 v30, s[14:15], s16, v30
	v_addc_co_u32_e64 v31, s[14:15], v0, v31, s[14:15]
	global_load_dwordx4 v[30:33], v[30:31], off
	s_waitcnt vmcnt(0)
	ds_write_b128 v16, v[30:33]
	s_and_saveexec_b64 s[14:15], s[6:7]
	s_xor_b64 s[14:15], exec, s[14:15]
	s_cbranch_execz .LBB8_27
; %bb.23:
	v_or_b32_e32 v0, s24, v17
	v_lshl_or_b32 v0, v0, 5, v2
	v_lshlrev_b64 v[30:31], 4, v[0:1]
	v_mov_b32_e32 v0, s17
	v_add_co_u32_e64 v30, s[14:15], s16, v30
	v_addc_co_u32_e64 v31, s[14:15], v0, v31, s[14:15]
	global_load_dwordx4 v[30:33], v[30:31], off
	s_waitcnt vmcnt(0)
	ds_write_b128 v18, v[30:33]
	s_and_saveexec_b64 s[14:15], s[8:9]
	s_xor_b64 s[14:15], exec, s[14:15]
	s_cbranch_execz .LBB8_27
; %bb.24:
	v_add_u32_e32 v0, s24, v19
	v_lshl_or_b32 v0, v0, 5, v2
	v_lshlrev_b64 v[30:31], 4, v[0:1]
	v_mov_b32_e32 v0, s17
	v_add_co_u32_e64 v30, s[14:15], s16, v30
	v_addc_co_u32_e64 v31, s[14:15], v0, v31, s[14:15]
	global_load_dwordx4 v[30:33], v[30:31], off
	s_waitcnt vmcnt(0)
	ds_write_b128 v20, v[30:33]
	s_and_saveexec_b64 s[14:15], s[10:11]
	s_xor_b64 s[14:15], exec, s[14:15]
	s_cbranch_execz .LBB8_27
; %bb.25:
	v_or_b32_e32 v0, s24, v21
	v_lshl_or_b32 v0, v0, 5, v2
	v_lshlrev_b64 v[30:31], 4, v[0:1]
	v_mov_b32_e32 v0, s17
	v_add_co_u32_e64 v30, s[14:15], s16, v30
	v_addc_co_u32_e64 v31, s[14:15], v0, v31, s[14:15]
	global_load_dwordx4 v[30:33], v[30:31], off
	s_waitcnt vmcnt(0)
	ds_write_b128 v22, v[30:33]
	s_and_saveexec_b64 s[14:15], s[12:13]
	s_xor_b64 s[14:15], exec, s[14:15]
	s_cbranch_execz .LBB8_27
; %bb.26:
	v_add_u32_e32 v0, s24, v23
	v_lshl_or_b32 v0, v0, 5, v2
	v_lshlrev_b64 v[30:31], 4, v[0:1]
	v_mov_b32_e32 v0, s17
	v_add_co_u32_e64 v30, s[14:15], s16, v30
	v_addc_co_u32_e64 v31, s[14:15], v0, v31, s[14:15]
	global_load_dwordx4 v[30:33], v[30:31], off
	s_waitcnt vmcnt(0)
	ds_write_b128 v24, v[30:33]
.LBB8_27:                               ; =>This Loop Header: Depth=1
                                        ;     Child Loop BB8_28 Depth 2
	s_or_b64 exec, exec, s[22:23]
	s_mov_b32 s14, 0
	v_mov_b32_e32 v35, 0
	v_mov_b32_e32 v37, v4
	;; [unrolled: 1-line block ×9, first 2 shown]
	s_waitcnt lgkmcnt(0)
	s_barrier
.LBB8_28:                               ;   Parent Loop BB8_27 Depth=1
                                        ; =>  This Inner Loop Header: Depth=2
	v_and_b32_e32 v42, 31, v37
	v_or_b32_e32 v38, v42, v8
	v_lshlrev_b32_e32 v38, 4, v38
	v_add_u32_e32 v60, s14, v25
	ds_read_b128 v[38:41], v38
	ds_read_b128 v[46:49], v60
	v_or_b32_e32 v42, v42, v9
	v_xor_b32_e32 v42, 16, v42
	v_lshlrev_b32_e32 v42, 4, v42
	ds_read_b128 v[42:45], v42
	s_waitcnt lgkmcnt(2)
	v_mov_b32_e32 v54, v39
	v_mov_b32_e32 v55, v40
	s_waitcnt lgkmcnt(1)
	v_mov_b32_e32 v58, v47
	v_mov_b32_e32 v59, v48
	v_fmac_f32_e32 v35, v46, v38
	v_pk_mul_f32 v[50:51], v[58:59], v[54:55]
	v_add_f32_e32 v35, v35, v50
	v_add_f32_e32 v35, v35, v51
	ds_read_b128 v[50:53], v60 offset:512
	s_waitcnt lgkmcnt(1)
	v_mov_b32_e32 v56, v43
	v_mov_b32_e32 v57, v44
	v_fmac_f32_e32 v36, v46, v42
	v_fmac_f32_e32 v35, v49, v41
	s_waitcnt lgkmcnt(0)
	v_mov_b32_e32 v46, v51
	v_fmac_f32_e32 v34, v50, v38
	v_fmac_f32_e32 v33, v50, v42
	v_pk_mul_f32 v[50:51], v[58:59], v[56:57]
	v_add_f32_e32 v36, v36, v50
	v_mov_b32_e32 v47, v52
	v_add_f32_e32 v36, v36, v51
	v_fmac_f32_e32 v36, v49, v45
	v_pk_mul_f32 v[48:49], v[46:47], v[54:55]
	v_pk_mul_f32 v[46:47], v[46:47], v[56:57]
	v_add_f32_e32 v34, v34, v48
	v_add_f32_e32 v33, v33, v46
	;; [unrolled: 1-line block ×4, first 2 shown]
	ds_read_b128 v[46:49], v60 offset:1024
	s_add_i32 s14, s14, 16
	v_fmac_f32_e32 v34, v53, v41
	v_fmac_f32_e32 v33, v53, v45
	v_add_u32_e32 v37, 1, v37
	s_waitcnt lgkmcnt(0)
	v_fmac_f32_e32 v32, v46, v38
	v_fmac_f32_e32 v31, v46, v42
	;; [unrolled: 1-line block ×8, first 2 shown]
	ds_read_b128 v[46:49], v60 offset:1536
	s_cmpk_eq_i32 s14, 0x200
	s_waitcnt lgkmcnt(0)
	v_fmac_f32_e32 v30, v46, v38
	v_fmac_f32_e32 v0, v46, v42
	;; [unrolled: 1-line block ×8, first 2 shown]
	s_cbranch_scc0 .LBB8_28
; %bb.29:                               ;   in Loop: Header=BB8_27 Depth=1
	v_add_u32_e32 v37, s24, v7
	v_cmp_gt_f32_e64 s[14:15], v35, v27
	v_cndmask_b32_e64 v26, v26, v37, s[14:15]
	v_cndmask_b32_e64 v27, v27, v35, s[14:15]
	v_cmp_gt_f32_e64 s[14:15], v36, v28
	v_cndmask_b32_e64 v29, v29, v37, s[14:15]
	v_cndmask_b32_e64 v28, v28, v36, s[14:15]
	v_or_b32_e32 v35, 1, v37
	v_cmp_gt_f32_e64 s[14:15], v34, v27
	v_cndmask_b32_e64 v26, v26, v35, s[14:15]
	v_cndmask_b32_e64 v27, v27, v34, s[14:15]
	v_cmp_gt_f32_e64 s[14:15], v33, v28
	v_cndmask_b32_e64 v29, v29, v35, s[14:15]
	v_cndmask_b32_e64 v28, v28, v33, s[14:15]
	v_or_b32_e32 v33, 2, v37
	;; [unrolled: 7-line block ×3, first 2 shown]
	v_cmp_gt_f32_e64 s[14:15], v30, v27
	v_cndmask_b32_e64 v26, v26, v31, s[14:15]
	v_cndmask_b32_e64 v27, v27, v30, s[14:15]
	v_cmp_gt_f32_e64 s[14:15], v0, v28
	v_cndmask_b32_e64 v29, v29, v31, s[14:15]
	v_cndmask_b32_e64 v28, v28, v0, s[14:15]
	s_add_i32 s14, s24, 32
	s_cmpk_gt_u32 s24, 0x3fdf
	s_barrier
	s_cbranch_scc1 .LBB8_31
; %bb.30:                               ;   in Loop: Header=BB8_27 Depth=1
	s_mov_b32 s24, s14
	s_and_saveexec_b64 s[22:23], vcc
	s_cbranch_execnz .LBB8_19
	s_branch .LBB8_27
.LBB8_31:
	s_movk_i32 s0, 0x80
	v_cmp_gt_u32_e32 vcc, s0, v6
	s_and_saveexec_b64 s[0:1], vcc
	s_cbranch_execz .LBB8_33
; %bb.32:
	v_lshlrev_b32_e32 v0, 2, v4
	v_lshl_or_b32 v0, v5, 7, v0
	ds_write2_b32 v0, v27, v28 offset1:16
	v_add_u32_e32 v0, 0x400, v0
	ds_write2_b32 v0, v26, v29 offset1:16
.LBB8_33:
	s_or_b64 exec, exec, s[0:1]
	v_cmp_eq_u32_e32 vcc, 0, v3
	s_waitcnt lgkmcnt(0)
	s_barrier
	s_and_saveexec_b64 s[0:1], vcc
	s_cbranch_execz .LBB8_35
; %bb.34:
	v_lshlrev_b32_e32 v3, 2, v2
	ds_read2_b32 v[0:1], v3 offset1:32
	ds_read2_b32 v[4:5], v3 offset0:64 offset1:96
	v_add_u32_e32 v6, 32, v2
	v_add_u32_e32 v7, 64, v2
	s_waitcnt lgkmcnt(1)
	v_cmp_gt_f32_e32 vcc, v1, v0
	v_cndmask_b32_e32 v0, v0, v1, vcc
	v_cndmask_b32_e32 v1, v2, v6, vcc
	s_waitcnt lgkmcnt(0)
	v_cmp_gt_f32_e32 vcc, v4, v0
	v_cndmask_b32_e32 v4, v0, v4, vcc
	v_cndmask_b32_e32 v6, v1, v7, vcc
	ds_read2_b32 v[0:1], v3 offset0:128 offset1:160
	v_cmp_gt_f32_e32 vcc, v5, v4
	v_add_u32_e32 v7, 0x60, v2
	v_cndmask_b32_e32 v4, v4, v5, vcc
	v_cndmask_b32_e32 v5, v6, v7, vcc
	v_add_u32_e32 v6, 0x80, v2
	s_waitcnt lgkmcnt(0)
	v_cmp_gt_f32_e32 vcc, v0, v4
	v_cndmask_b32_e32 v0, v4, v0, vcc
	v_cndmask_b32_e32 v6, v5, v6, vcc
	ds_read2_b32 v[4:5], v3 offset0:192 offset1:224
	v_cmp_gt_f32_e32 vcc, v1, v0
	v_add_u32_e32 v7, 0xa0, v2
	v_cndmask_b32_e32 v0, v0, v1, vcc
	v_cndmask_b32_e32 v1, v6, v7, vcc
	s_waitcnt lgkmcnt(0)
	v_cmp_gt_f32_e32 vcc, v4, v0
	v_add_u32_e32 v3, 0xc0, v2
	v_cndmask_b32_e32 v0, v0, v4, vcc
	v_cndmask_b32_e32 v1, v1, v3, vcc
	v_add_u32_e32 v3, 0xe0, v2
	v_cmp_gt_f32_e32 vcc, v5, v0
	v_cndmask_b32_e32 v4, v0, v5, vcc
	v_cndmask_b32_e32 v0, v1, v3, vcc
	v_lshlrev_b32_e32 v0, 2, v0
	ds_read_b32 v5, v0 offset:1024
	v_add_u32_e32 v0, s26, v2
	v_ashrrev_i32_e32 v1, 31, v0
	v_lshlrev_b64 v[0:1], 2, v[0:1]
	v_mov_b32_e32 v3, s19
	v_add_co_u32_e32 v2, vcc, s18, v0
	v_addc_co_u32_e32 v3, vcc, v3, v1, vcc
	global_store_dword v[2:3], v4, off
	v_mov_b32_e32 v2, s21
	v_add_co_u32_e32 v0, vcc, s20, v0
	v_addc_co_u32_e32 v1, vcc, v2, v1, vcc
	s_waitcnt lgkmcnt(0)
	global_store_dword v[0:1], v5, off
.LBB8_35:
	s_endpgm
	.section	.rodata,"a",@progbits
	.p2align	6, 0x0
	.amdhsa_kernel _Z6Match9PKfS0_PfPi
		.amdhsa_group_segment_fixed_size 32768
		.amdhsa_private_segment_fixed_size 0
		.amdhsa_kernarg_size 32
		.amdhsa_user_sgpr_count 6
		.amdhsa_user_sgpr_private_segment_buffer 1
		.amdhsa_user_sgpr_dispatch_ptr 0
		.amdhsa_user_sgpr_queue_ptr 0
		.amdhsa_user_sgpr_kernarg_segment_ptr 1
		.amdhsa_user_sgpr_dispatch_id 0
		.amdhsa_user_sgpr_flat_scratch_init 0
		.amdhsa_user_sgpr_kernarg_preload_length 0
		.amdhsa_user_sgpr_kernarg_preload_offset 0
		.amdhsa_user_sgpr_private_segment_size 0
		.amdhsa_uses_dynamic_stack 0
		.amdhsa_system_sgpr_private_segment_wavefront_offset 0
		.amdhsa_system_sgpr_workgroup_id_x 1
		.amdhsa_system_sgpr_workgroup_id_y 0
		.amdhsa_system_sgpr_workgroup_id_z 0
		.amdhsa_system_sgpr_workgroup_info 0
		.amdhsa_system_vgpr_workitem_id 1
		.amdhsa_next_free_vgpr 61
		.amdhsa_next_free_sgpr 27
		.amdhsa_accum_offset 64
		.amdhsa_reserve_vcc 1
		.amdhsa_reserve_flat_scratch 0
		.amdhsa_float_round_mode_32 0
		.amdhsa_float_round_mode_16_64 0
		.amdhsa_float_denorm_mode_32 3
		.amdhsa_float_denorm_mode_16_64 3
		.amdhsa_dx10_clamp 1
		.amdhsa_ieee_mode 1
		.amdhsa_fp16_overflow 0
		.amdhsa_tg_split 0
		.amdhsa_exception_fp_ieee_invalid_op 0
		.amdhsa_exception_fp_denorm_src 0
		.amdhsa_exception_fp_ieee_div_zero 0
		.amdhsa_exception_fp_ieee_overflow 0
		.amdhsa_exception_fp_ieee_underflow 0
		.amdhsa_exception_fp_ieee_inexact 0
		.amdhsa_exception_int_div_zero 0
	.end_amdhsa_kernel
	.text
.Lfunc_end8:
	.size	_Z6Match9PKfS0_PfPi, .Lfunc_end8-_Z6Match9PKfS0_PfPi
                                        ; -- End function
	.section	.AMDGPU.csdata,"",@progbits
; Kernel info:
; codeLenInByte = 2752
; NumSgprs: 31
; NumVgprs: 61
; NumAgprs: 0
; TotalNumVgprs: 61
; ScratchSize: 0
; MemoryBound: 0
; FloatMode: 240
; IeeeMode: 1
; LDSByteSize: 32768 bytes/workgroup (compile time only)
; SGPRBlocks: 3
; VGPRBlocks: 7
; NumSGPRsForWavesPerEU: 31
; NumVGPRsForWavesPerEU: 61
; AccumOffset: 64
; Occupancy: 8
; WaveLimiterHint : 0
; COMPUTE_PGM_RSRC2:SCRATCH_EN: 0
; COMPUTE_PGM_RSRC2:USER_SGPR: 6
; COMPUTE_PGM_RSRC2:TRAP_HANDLER: 0
; COMPUTE_PGM_RSRC2:TGID_X_EN: 1
; COMPUTE_PGM_RSRC2:TGID_Y_EN: 0
; COMPUTE_PGM_RSRC2:TGID_Z_EN: 0
; COMPUTE_PGM_RSRC2:TIDIG_COMP_CNT: 1
; COMPUTE_PGM_RSRC3_GFX90A:ACCUM_OFFSET: 15
; COMPUTE_PGM_RSRC3_GFX90A:TG_SPLIT: 0
	.text
	.protected	_Z7Match10PKfS0_PfPi    ; -- Begin function _Z7Match10PKfS0_PfPi
	.globl	_Z7Match10PKfS0_PfPi
	.p2align	8
	.type	_Z7Match10PKfS0_PfPi,@function
_Z7Match10PKfS0_PfPi:                   ; @_Z7Match10PKfS0_PfPi
; %bb.0:
	v_and_b32_e32 v70, 0x3ff, v0
	v_bfe_u32 v71, v0, 10, 10
	v_or_b32_e32 v0, v70, v71
	v_cmp_lt_u32_e32 vcc, 31, v0
	v_lshlrev_b32_e32 v0, 5, v71
	s_and_saveexec_b64 s[0:1], vcc
	s_xor_b64 s[0:1], exec, s[0:1]
; %bb.1:
	v_lshlrev_b32_e32 v0, 5, v71
; %bb.2:
	s_or_saveexec_b64 s[0:1], s[0:1]
	s_load_dwordx4 s[8:11], s[4:5], 0x8
	s_load_dwordx2 s[2:3], s[4:5], 0x18
	s_xor_b64 exec, exec, s[0:1]
	s_cbranch_execz .LBB9_6
; %bb.3:
	s_load_dwordx2 s[4:5], s[4:5], 0x0
	v_add_u32_e32 v1, v71, v70
	v_lshl_add_u32 v2, s6, 10, v0
	s_mov_b64 s[12:13], 0
	v_mov_b32_e32 v3, v0
	s_waitcnt lgkmcnt(0)
	v_mov_b32_e32 v4, s5
	v_mov_b32_e32 v5, v71
.LBB9_4:                                ; =>This Inner Loop Header: Depth=1
	v_add_u32_e32 v6, v70, v2
	v_ashrrev_i32_e32 v7, 31, v6
	v_lshlrev_b64 v[6:7], 4, v[6:7]
	v_add_co_u32_e32 v6, vcc, s4, v6
	v_addc_co_u32_e32 v7, vcc, v4, v7, vcc
	global_load_dwordx4 v[6:9], v[6:7], off
	v_and_b32_e32 v10, 31, v1
	v_add_u32_e32 v11, 8, v5
	v_cmp_lt_u32_e32 vcc, 23, v5
	v_add_u16_e32 v1, 8, v1
	v_add_u32_e32 v2, 0x100, v2
	v_add_lshl_u32 v10, v3, v10, 4
	v_add_u32_e32 v3, 0x100, v3
	s_or_b64 s[12:13], vcc, s[12:13]
	v_mov_b32_e32 v5, v11
	s_waitcnt vmcnt(0)
	ds_write_b128 v10, v[6:9]
	s_andn2_b64 exec, exec, s[12:13]
	s_cbranch_execnz .LBB9_4
; %bb.5:
	s_or_b64 exec, exec, s[12:13]
.LBB9_6:
	s_or_b64 exec, exec, s[0:1]
	v_add_u32_e32 v0, v0, v70
	v_and_b32_e32 v73, 7, v70
	v_lshrrev_b32_e32 v75, 3, v0
	v_lshrrev_b32_e32 v1, 4, v0
	s_mov_b32 s0, 0xfff8
	v_mov_b32_e32 v3, 0x4000
	s_movk_i32 s4, 0x80
	v_lshl_or_b32 v44, v75, 5, v73
	v_mov_b32_e32 v45, 0
	v_and_or_b32 v2, v0, s0, v73
	v_cmp_gt_u32_e64 s[0:1], s4, v0
	v_lshlrev_b32_e32 v74, 5, v1
	v_lshlrev_b32_e32 v77, 2, v1
	v_lshl_add_u32 v80, v1, 9, v3
	v_lshlrev_b64 v[0:1], 4, v[44:45]
	s_waitcnt lgkmcnt(0)
	v_mov_b32_e32 v81, s9
	v_add_co_u32_e32 v0, vcc, s8, v0
	v_and_b32_e32 v72, 15, v70
	v_addc_co_u32_e32 v1, vcc, v1, v81, vcc
	v_lshlrev_b32_e32 v78, 5, v72
	v_add_co_u32_e32 v46, vcc, s4, v0
	v_lshl_add_u32 v76, v2, 4, v3
	v_or_b32_e32 v79, 0x200, v78
	v_addc_co_u32_e32 v47, vcc, 0, v1, vcc
	s_mov_b32 s4, 0
	v_mov_b32_e32 v82, -1
	s_mov_b32 s7, 0
                                        ; implicit-def: $vgpr0_vgpr1_vgpr2_vgpr3
	v_mov_b32_e32 v83, 0
	v_mov_b32_e32 v84, 0
	v_mov_b32_e32 v85, -1
.LBB9_7:                                ; =>This Loop Header: Depth=1
                                        ;     Child Loop BB9_9 Depth 2
	v_add_u32_e32 v4, s7, v75
	v_lshl_or_b32 v44, v4, 5, v73
	v_lshlrev_b64 v[4:5], 4, v[44:45]
	v_add_co_u32_e32 v4, vcc, s8, v4
	v_addc_co_u32_e32 v5, vcc, v81, v5, vcc
	global_load_dwordx4 v[4:7], v[4:5], off
	s_mov_b32 s5, s4
	v_pk_mov_b32 v[48:49], v[46:47], v[46:47] op_sel:[0,1]
	s_mov_b32 s9, 0
	v_pk_mov_b32 v[40:41], s[4:5], s[4:5] op_sel:[0,1]
	v_pk_mov_b32 v[42:43], s[4:5], s[4:5] op_sel:[0,1]
	;; [unrolled: 1-line block ×4, first 2 shown]
	s_waitcnt vmcnt(0)
	ds_write_b128 v76, v[4:7]
	s_waitcnt lgkmcnt(0)
	s_barrier
	s_branch .LBB9_9
.LBB9_8:                                ;   in Loop: Header=BB9_9 Depth=2
	v_add_co_u32_e32 v48, vcc, 0x80, v48
	v_addc_co_u32_e32 v49, vcc, 0, v49, vcc
	s_add_i32 s9, s9, 8
	s_and_b64 vcc, exec, s[12:13]
	s_cbranch_vccnz .LBB9_15
.LBB9_9:                                ;   Parent Loop BB9_7 Depth=1
                                        ; =>  This Inner Loop Header: Depth=2
	s_cmp_lt_u32 s9, 24
	s_cselect_b64 s[14:15], -1, 0
	s_cmp_gt_u32 s9, 23
	s_cselect_b64 s[12:13], -1, 0
	s_and_b64 vcc, exec, s[12:13]
	s_cbranch_vccnz .LBB9_11
; %bb.10:                               ;   in Loop: Header=BB9_9 Depth=2
	global_load_dwordx4 v[0:3], v[48:49], off
.LBB9_11:                               ;   in Loop: Header=BB9_9 Depth=2
	s_and_saveexec_b64 s[16:17], s[0:1]
	s_cbranch_execz .LBB9_13
; %bb.12:                               ;   in Loop: Header=BB9_9 Depth=2
	v_add_u32_e32 v44, s9, v72
	v_and_b32_e32 v4, 31, v44
	v_or_b32_e32 v5, v4, v78
	v_or_b32_e32 v4, v4, v79
	v_xor_b32_e32 v4, 16, v4
	v_lshlrev_b32_e32 v20, 4, v5
	v_lshlrev_b32_e32 v4, 4, v4
	ds_read_b128 v[32:35], v80
	ds_read_b128 v[12:15], v80 offset:16
	ds_read_b128 v[16:19], v4
	ds_read_b128 v[8:11], v80 offset:32
	ds_read_b128 v[4:7], v80 offset:48
	ds_read_b128 v[20:23], v20
	ds_read_b128 v[54:57], v80 offset:128
	ds_read_b128 v[28:31], v80 offset:256
	;; [unrolled: 1-line block ×4, first 2 shown]
	s_waitcnt lgkmcnt(7)
	v_fma_f32 v52, v32, v16, v52
	s_waitcnt lgkmcnt(4)
	v_fmac_f32_e32 v53, v32, v20
	s_waitcnt lgkmcnt(2)
	v_pk_mul_f32 v[58:59], v[28:29], v[16:17]
	v_pk_fma_f32 v[60:61], v[28:29], v[16:17], v[42:43]
	v_mov_b32_e32 v42, v59
	v_pk_add_f32 v[58:59], v[60:61], v[42:43]
	v_pk_mul_f32 v[60:61], v[30:31], v[18:19]
	v_pk_fma_f32 v[58:59], v[30:31], v[18:19], v[58:59]
	v_mov_b32_e32 v42, v61
	v_pk_add_f32 v[66:67], v[58:59], v[42:43]
	ds_read_b128 v[58:61], v80 offset:384
	v_fmac_f32_e32 v52, v33, v17
	v_fmac_f32_e32 v53, v33, v21
	v_pk_mul_f32 v[32:33], v[28:29], v[20:21]
	v_mov_b32_e32 v32, v43
	v_pk_fma_f32 v[28:29], v[28:29], v[20:21], v[32:33]
	v_mov_b32_e32 v32, v33
	v_pk_add_f32 v[28:29], v[28:29], v[32:33]
	s_waitcnt lgkmcnt(0)
	v_pk_mul_f32 v[32:33], v[58:59], v[20:21]
	v_fmac_f32_e32 v51, v54, v20
	v_mov_b32_e32 v32, v41
	v_fmac_f32_e32 v51, v55, v21
	v_pk_fma_f32 v[20:21], v[58:59], v[20:21], v[32:33]
	v_mov_b32_e32 v32, v33
	v_pk_add_f32 v[20:21], v[20:21], v[32:33]
	v_pk_mul_f32 v[32:33], v[30:31], v[22:23]
	v_pk_fma_f32 v[28:29], v[30:31], v[22:23], v[28:29]
	v_mov_b32_e32 v30, v33
	v_pk_add_f32 v[28:29], v[28:29], v[30:31]
	v_pk_mul_f32 v[30:31], v[60:61], v[22:23]
	v_fmac_f32_e32 v53, v34, v22
	v_fmac_f32_e32 v51, v56, v22
	v_pk_fma_f32 v[20:21], v[60:61], v[22:23], v[20:21]
	v_mov_b32_e32 v22, v31
	v_fma_f32 v50, v54, v16, v50
	v_pk_add_f32 v[30:31], v[20:21], v[22:23]
	v_pk_mul_f32 v[20:21], v[58:59], v[16:17]
	v_fmac_f32_e32 v50, v55, v17
	v_pk_fma_f32 v[16:17], v[58:59], v[16:17], v[40:41]
	v_mov_b32_e32 v20, v21
	v_pk_add_f32 v[16:17], v[16:17], v[20:21]
	v_pk_mul_f32 v[20:21], v[60:61], v[18:19]
	v_fmac_f32_e32 v52, v34, v18
	v_fmac_f32_e32 v50, v56, v18
	v_pk_fma_f32 v[16:17], v[60:61], v[18:19], v[16:17]
	v_mov_b32_e32 v18, v21
	v_fmac_f32_e32 v52, v35, v19
	v_fmac_f32_e32 v53, v35, v23
	v_pk_add_f32 v[34:35], v[16:17], v[18:19]
	v_add_u32_e32 v16, 17, v44
	v_add_u32_e32 v20, 1, v44
	v_and_b32_e32 v16, 31, v16
	v_and_or_b32 v20, v20, 31, v78
	v_add_lshl_u32 v16, v16, v78, 4
	v_lshlrev_b32_e32 v20, 4, v20
	v_fmac_f32_e32 v50, v57, v19
	v_fmac_f32_e32 v51, v57, v23
	ds_read_b128 v[16:19], v16 offset:8192
	ds_read_b128 v[20:23], v20
	ds_read_b128 v[62:65], v80 offset:400
	s_waitcnt lgkmcnt(2)
	v_fmac_f32_e32 v52, v12, v16
	s_waitcnt lgkmcnt(1)
	v_fmac_f32_e32 v53, v12, v20
	v_fmac_f32_e32 v52, v13, v17
	;; [unrolled: 1-line block ×5, first 2 shown]
	v_pk_mul_f32 v[12:13], v[36:37], v[20:21]
	v_fmac_f32_e32 v50, v25, v17
	v_fmac_f32_e32 v52, v14, v18
	;; [unrolled: 1-line block ×3, first 2 shown]
	v_pk_fma_f32 v[24:25], v[36:37], v[20:21], v[28:29]
	v_mov_b32_e32 v12, v13
	v_fmac_f32_e32 v53, v14, v22
	v_fmac_f32_e32 v52, v15, v19
	v_pk_add_f32 v[12:13], v[24:25], v[12:13]
	s_waitcnt lgkmcnt(0)
	v_pk_mul_f32 v[24:25], v[62:63], v[20:21]
	v_fmac_f32_e32 v53, v15, v23
	v_pk_mul_f32 v[14:15], v[38:39], v[22:23]
	v_pk_fma_f32 v[20:21], v[62:63], v[20:21], v[30:31]
	v_mov_b32_e32 v24, v25
	v_pk_fma_f32 v[12:13], v[38:39], v[22:23], v[12:13]
	v_mov_b32_e32 v14, v15
	v_pk_add_f32 v[20:21], v[20:21], v[24:25]
	v_pk_add_f32 v[56:57], v[12:13], v[14:15]
	v_pk_mul_f32 v[12:13], v[64:65], v[22:23]
	v_pk_fma_f32 v[14:15], v[64:65], v[22:23], v[20:21]
	v_mov_b32_e32 v12, v13
	v_pk_add_f32 v[54:55], v[14:15], v[12:13]
	v_pk_mul_f32 v[12:13], v[62:63], v[16:17]
	v_pk_fma_f32 v[14:15], v[62:63], v[16:17], v[34:35]
	v_mov_b32_e32 v12, v13
	;; [unrolled: 4-line block ×3, first 2 shown]
	v_pk_add_f32 v[58:59], v[12:13], v[14:15]
	v_add_u32_e32 v12, 2, v44
	v_add_u32_e32 v13, 18, v44
	v_and_or_b32 v12, v12, 31, v78
	v_and_b32_e32 v13, 31, v13
	v_pk_mul_f32 v[32:33], v[36:37], v[16:17]
	v_pk_fma_f32 v[40:41], v[36:37], v[16:17], v[66:67]
	v_fmac_f32_e32 v50, v26, v18
	v_fmac_f32_e32 v51, v26, v22
	v_lshlrev_b32_e32 v12, 4, v12
	v_add_lshl_u32 v16, v13, v78, 4
	v_fmac_f32_e32 v50, v27, v19
	v_fmac_f32_e32 v51, v27, v23
	ds_read_b128 v[12:15], v12
	ds_read_b128 v[24:27], v16 offset:8192
	v_add_u32_e32 v16, 3, v44
	v_mov_b32_e32 v32, v33
	v_and_or_b32 v16, v16, 31, v78
	v_add_u32_e32 v17, 19, v44
	v_pk_add_f32 v[32:33], v[40:41], v[32:33]
	v_lshlrev_b32_e32 v16, 4, v16
	v_and_b32_e32 v17, 31, v17
	v_pk_mul_f32 v[40:41], v[38:39], v[18:19]
	v_pk_fma_f32 v[32:33], v[38:39], v[18:19], v[32:33]
	v_add_lshl_u32 v20, v17, v78, 4
	ds_read_b128 v[16:19], v16
	ds_read_b128 v[28:31], v20 offset:8192
	v_add_u32_e32 v20, 4, v44
	v_add_u32_e32 v21, 20, v44
	v_and_or_b32 v20, v20, 31, v78
	v_and_b32_e32 v21, 31, v21
	v_mov_b32_e32 v40, v41
	v_lshlrev_b32_e32 v20, 4, v20
	v_add_lshl_u32 v34, v21, v78, 4
	v_pk_add_f32 v[32:33], v[32:33], v[40:41]
	ds_read_b128 v[20:23], v20
	ds_read_b128 v[34:37], v34 offset:8192
	s_waitcnt lgkmcnt(2)
	v_mov_b32_e32 v60, v28
	v_mov_b32_e32 v61, v16
	;; [unrolled: 1-line block ×6, first 2 shown]
	ds_read_b128 v[86:89], v80 offset:288
	ds_read_b128 v[28:31], v80 offset:304
	;; [unrolled: 1-line block ×4, first 2 shown]
	v_fmac_f32_e32 v52, v8, v24
	v_fmac_f32_e32 v53, v8, v12
	s_waitcnt lgkmcnt(4)
	v_mov_b32_e32 v64, v34
	s_waitcnt lgkmcnt(1)
	v_fmac_f32_e32 v50, v90, v24
	v_mov_b32_e32 v65, v20
	v_mov_b32_e32 v20, v35
	v_pk_mul_f32 v[34:35], v[86:87], v[24:25]
	v_pk_fma_f32 v[32:33], v[86:87], v[24:25], v[32:33]
	v_mov_b32_e32 v68, v26
	v_mov_b32_e32 v69, v14
	v_fmac_f32_e32 v52, v9, v25
	v_fmac_f32_e32 v50, v91, v25
	s_waitcnt lgkmcnt(0)
	v_pk_fma_f32 v[58:59], v[40:41], v[24:25], v[58:59]
	v_pk_mul_f32 v[24:25], v[40:41], v[24:25]
	v_fmac_f32_e32 v53, v9, v13
	v_mov_b32_e32 v14, v27
	v_mov_b32_e32 v24, v25
	v_pk_fma_f32 v[8:9], v[10:11], v[68:69], v[52:53] op_sel_hi:[0,1,1]
	v_mov_b32_e32 v10, v11
	v_pk_add_f32 v[58:59], v[58:59], v[24:25]
	v_pk_fma_f32 v[8:9], v[10:11], v[14:15], v[8:9] op_sel_hi:[0,1,1]
	ds_read_b128 v[24:27], v80 offset:64
	v_pk_fma_f32 v[8:9], v[4:5], v[60:61], v[8:9] op_sel_hi:[0,1,1]
	v_pk_fma_f32 v[4:5], v[4:5], v[16:17], v[8:9] op_sel:[1,0,0]
	ds_read_b128 v[8:11], v80 offset:80
	v_pk_fma_f32 v[4:5], v[6:7], v[62:63], v[4:5] op_sel_hi:[0,1,1]
	v_mov_b32_e32 v6, v7
	v_pk_fma_f32 v[4:5], v[6:7], v[18:19], v[4:5] op_sel_hi:[0,1,1]
	s_waitcnt lgkmcnt(1)
	v_pk_fma_f32 v[4:5], v[24:25], v[64:65], v[4:5] op_sel_hi:[0,1,1]
	v_mov_b32_e32 v66, v36
	v_mov_b32_e32 v67, v22
	v_pk_fma_f32 v[4:5], v[24:25], v[20:21], v[4:5] op_sel:[1,0,0]
	v_fmac_f32_e32 v51, v90, v12
	v_mov_b32_e32 v22, v37
	v_pk_fma_f32 v[4:5], v[26:27], v[66:67], v[4:5] op_sel_hi:[0,1,1]
	v_mov_b32_e32 v6, v27
	v_fmac_f32_e32 v51, v91, v13
	v_pk_fma_f32 v[24:25], v[6:7], v[22:23], v[4:5] op_sel_hi:[0,1,1]
	v_pk_fma_f32 v[4:5], v[92:93], v[68:69], v[50:51] op_sel_hi:[0,1,1]
	v_mov_b32_e32 v6, v93
	v_pk_fma_f32 v[26:27], v[6:7], v[14:15], v[4:5] op_sel_hi:[0,1,1]
	v_pk_fma_f32 v[4:5], v[86:87], v[12:13], v[56:57]
	v_pk_fma_f32 v[50:51], v[40:41], v[12:13], v[54:55]
	v_mov_b32_e32 v34, v35
	v_mov_b32_e32 v5, v4
	;; [unrolled: 1-line block ×4, first 2 shown]
	v_pk_add_f32 v[94:95], v[32:33], v[34:35]
	v_pk_fma_f32 v[4:5], v[86:87], v[12:13], v[4:5]
	v_pk_fma_f32 v[12:13], v[40:41], v[12:13], v[6:7]
	v_add_u32_e32 v7, 5, v44
	v_mov_b32_e32 v95, v5
	v_and_or_b32 v7, v7, 31, v78
	v_pk_fma_f32 v[4:5], v[88:89], v[68:69], v[94:95] op_sel_hi:[0,1,1]
	v_lshlrev_b32_e32 v7, 4, v7
	v_pk_fma_f32 v[40:41], v[6:7], v[14:15], v[4:5] op_sel_hi:[0,1,1]
	v_add_u32_e32 v4, 21, v44
	v_and_b32_e32 v4, 31, v4
	v_add_lshl_u32 v4, v4, v78, 4
	ds_read_b128 v[36:39], v80 offset:176
	ds_read_b128 v[32:35], v80 offset:432
	;; [unrolled: 1-line block ×3, first 2 shown]
	ds_read_b128 v[4:7], v7
	v_mov_b32_e32 v59, v13
	v_pk_fma_f32 v[12:13], v[42:43], v[68:69], v[58:59] op_sel_hi:[0,1,1]
	v_mov_b32_e32 v42, v43
	v_pk_fma_f32 v[42:43], v[42:43], v[14:15], v[12:13] op_sel_hi:[0,1,1]
	s_waitcnt lgkmcnt(1)
	v_mov_b32_e32 v54, v50
	s_waitcnt lgkmcnt(0)
	v_mov_b32_e32 v55, v4
	v_pk_fma_f32 v[12:13], v[36:37], v[60:61], v[26:27] op_sel_hi:[0,1,1]
	v_pk_fma_f32 v[58:59], v[8:9], v[54:55], v[24:25] op_sel_hi:[0,1,1]
	v_pk_fma_f32 v[24:25], v[36:37], v[16:17], v[12:13] op_sel:[1,0,0]
	ds_read_b128 v[12:15], v80 offset:192
	v_pk_fma_f32 v[24:25], v[38:39], v[62:63], v[24:25] op_sel_hi:[0,1,1]
	v_mov_b32_e32 v26, v39
	ds_read_b128 v[36:39], v80 offset:208
	v_pk_fma_f32 v[24:25], v[26:27], v[18:19], v[24:25] op_sel_hi:[0,1,1]
	s_waitcnt lgkmcnt(1)
	v_pk_fma_f32 v[24:25], v[12:13], v[64:65], v[24:25] op_sel_hi:[0,1,1]
	v_pk_fma_f32 v[12:13], v[12:13], v[20:21], v[24:25] op_sel:[1,0,0]
	v_pk_fma_f32 v[12:13], v[14:15], v[66:67], v[12:13] op_sel_hi:[0,1,1]
	v_mov_b32_e32 v14, v15
	v_pk_fma_f32 v[12:13], v[14:15], v[22:23], v[12:13] op_sel_hi:[0,1,1]
	v_mov_b32_e32 v4, v51
	s_waitcnt lgkmcnt(0)
	v_pk_fma_f32 v[50:51], v[36:37], v[54:55], v[12:13] op_sel_hi:[0,1,1]
	v_pk_fma_f32 v[12:13], v[28:29], v[60:61], v[40:41] op_sel_hi:[0,1,1]
	v_pk_fma_f32 v[24:25], v[28:29], v[16:17], v[12:13] op_sel:[1,0,0]
	ds_read_b128 v[12:15], v80 offset:320
	v_pk_fma_f32 v[24:25], v[30:31], v[62:63], v[24:25] op_sel_hi:[0,1,1]
	v_mov_b32_e32 v26, v31
	v_pk_fma_f32 v[28:29], v[26:27], v[18:19], v[24:25] op_sel_hi:[0,1,1]
	ds_read_b128 v[24:27], v80 offset:336
	s_waitcnt lgkmcnt(1)
	v_pk_fma_f32 v[28:29], v[12:13], v[64:65], v[28:29] op_sel_hi:[0,1,1]
	v_pk_fma_f32 v[12:13], v[12:13], v[20:21], v[28:29] op_sel:[1,0,0]
	v_pk_fma_f32 v[12:13], v[14:15], v[66:67], v[12:13] op_sel_hi:[0,1,1]
	v_mov_b32_e32 v14, v15
	v_pk_fma_f32 v[12:13], v[14:15], v[22:23], v[12:13] op_sel_hi:[0,1,1]
	s_waitcnt lgkmcnt(0)
	v_pk_fma_f32 v[28:29], v[24:25], v[54:55], v[12:13] op_sel_hi:[0,1,1]
	v_pk_fma_f32 v[12:13], v[32:33], v[60:61], v[42:43] op_sel_hi:[0,1,1]
	v_pk_fma_f32 v[12:13], v[32:33], v[16:17], v[12:13] op_sel:[1,0,0]
	ds_read_b128 v[30:33], v80 offset:448
	v_pk_fma_f32 v[16:17], v[34:35], v[62:63], v[12:13] op_sel_hi:[0,1,1]
	ds_read_b128 v[12:15], v80 offset:464
	v_mov_b32_e32 v34, v35
	v_pk_fma_f32 v[16:17], v[34:35], v[18:19], v[16:17] op_sel_hi:[0,1,1]
	s_waitcnt lgkmcnt(1)
	v_pk_fma_f32 v[16:17], v[30:31], v[64:65], v[16:17] op_sel_hi:[0,1,1]
	v_pk_fma_f32 v[16:17], v[30:31], v[20:21], v[16:17] op_sel:[1,0,0]
	v_pk_fma_f32 v[16:17], v[32:33], v[66:67], v[16:17] op_sel_hi:[0,1,1]
	v_mov_b32_e32 v18, v33
	v_pk_fma_f32 v[16:17], v[18:19], v[22:23], v[16:17] op_sel_hi:[0,1,1]
	s_waitcnt lgkmcnt(0)
	v_pk_fma_f32 v[20:21], v[12:13], v[54:55], v[16:17] op_sel_hi:[0,1,1]
	v_add_u32_e32 v16, 6, v44
	v_add_u32_e32 v17, 22, v44
	v_and_or_b32 v16, v16, 31, v78
	v_and_b32_e32 v17, 31, v17
	v_lshlrev_b32_e32 v16, 4, v16
	v_add_lshl_u32 v22, v17, v78, 4
	ds_read_b128 v[16:19], v16
	ds_read_b128 v[30:33], v22 offset:8192
	v_add_u32_e32 v22, 7, v44
	v_add_u32_e32 v23, 23, v44
	v_and_or_b32 v22, v22, 31, v78
	v_and_b32_e32 v23, 31, v23
	v_lshlrev_b32_e32 v22, 4, v22
	v_add_lshl_u32 v23, v23, v78, 4
	v_pk_fma_f32 v[8:9], v[8:9], v[4:5], v[58:59] op_sel:[1,0,0]
	v_mov_b32_e32 v34, v52
	v_mov_b32_e32 v35, v6
	ds_read_b128 v[54:57], v22
	ds_read_b128 v[40:43], v23 offset:8192
	v_pk_fma_f32 v[22:23], v[10:11], v[34:35], v[8:9] op_sel_hi:[0,1,1]
	v_mov_b32_e32 v44, v11
	ds_read_b128 v[8:11], v80 offset:96
	ds_read_b128 v[58:61], v80 offset:112
	v_mov_b32_e32 v6, v53
	v_pk_fma_f32 v[22:23], v[44:45], v[6:7], v[22:23] op_sel_hi:[0,1,1]
	s_waitcnt lgkmcnt(4)
	v_mov_b32_e32 v62, v30
	v_mov_b32_e32 v63, v16
	s_waitcnt lgkmcnt(1)
	v_pk_fma_f32 v[22:23], v[8:9], v[62:63], v[22:23] op_sel_hi:[0,1,1]
	v_mov_b32_e32 v16, v31
	v_pk_fma_f32 v[8:9], v[8:9], v[16:17], v[22:23] op_sel:[1,0,0]
	v_mov_b32_e32 v64, v32
	v_mov_b32_e32 v65, v18
	v_pk_fma_f32 v[8:9], v[10:11], v[64:65], v[8:9] op_sel_hi:[0,1,1]
	v_mov_b32_e32 v10, v11
	v_mov_b32_e32 v18, v33
	v_pk_fma_f32 v[8:9], v[10:11], v[18:19], v[8:9] op_sel_hi:[0,1,1]
	v_mov_b32_e32 v66, v40
	v_mov_b32_e32 v67, v54
	s_waitcnt lgkmcnt(0)
	v_pk_fma_f32 v[8:9], v[58:59], v[66:67], v[8:9] op_sel_hi:[0,1,1]
	v_mov_b32_e32 v54, v41
	v_pk_fma_f32 v[8:9], v[58:59], v[54:55], v[8:9] op_sel:[1,0,0]
	v_mov_b32_e32 v40, v42
	v_mov_b32_e32 v41, v56
	v_pk_fma_f32 v[8:9], v[60:61], v[40:41], v[8:9] op_sel_hi:[0,1,1]
	v_mov_b32_e32 v10, v61
	v_mov_b32_e32 v56, v43
	v_pk_fma_f32 v[52:53], v[10:11], v[56:57], v[8:9] op_sel_hi:[0,1,1]
	ds_read_b128 v[8:11], v80 offset:224
	ds_read_b128 v[30:33], v80 offset:240
	v_pk_fma_f32 v[22:23], v[36:37], v[4:5], v[50:51] op_sel:[1,0,0]
	v_pk_fma_f32 v[22:23], v[38:39], v[34:35], v[22:23] op_sel_hi:[0,1,1]
	v_mov_b32_e32 v36, v39
	v_pk_fma_f32 v[22:23], v[36:37], v[6:7], v[22:23] op_sel_hi:[0,1,1]
	s_waitcnt lgkmcnt(1)
	v_pk_fma_f32 v[22:23], v[8:9], v[62:63], v[22:23] op_sel_hi:[0,1,1]
	v_pk_fma_f32 v[8:9], v[8:9], v[16:17], v[22:23] op_sel:[1,0,0]
	v_pk_fma_f32 v[8:9], v[10:11], v[64:65], v[8:9] op_sel_hi:[0,1,1]
	v_mov_b32_e32 v10, v11
	v_pk_fma_f32 v[8:9], v[10:11], v[18:19], v[8:9] op_sel_hi:[0,1,1]
	s_waitcnt lgkmcnt(0)
	v_pk_fma_f32 v[8:9], v[30:31], v[66:67], v[8:9] op_sel_hi:[0,1,1]
	v_pk_fma_f32 v[8:9], v[30:31], v[54:55], v[8:9] op_sel:[1,0,0]
	v_pk_fma_f32 v[8:9], v[32:33], v[40:41], v[8:9] op_sel_hi:[0,1,1]
	v_mov_b32_e32 v10, v33
	v_pk_fma_f32 v[50:51], v[10:11], v[56:57], v[8:9] op_sel_hi:[0,1,1]
	ds_read_b128 v[8:11], v80 offset:352
	ds_read_b128 v[30:33], v80 offset:368
	v_pk_fma_f32 v[22:23], v[24:25], v[4:5], v[28:29] op_sel:[1,0,0]
	v_pk_fma_f32 v[22:23], v[26:27], v[34:35], v[22:23] op_sel_hi:[0,1,1]
	v_mov_b32_e32 v24, v27
	v_pk_fma_f32 v[22:23], v[24:25], v[6:7], v[22:23] op_sel_hi:[0,1,1]
	s_waitcnt lgkmcnt(1)
	v_pk_fma_f32 v[22:23], v[8:9], v[62:63], v[22:23] op_sel_hi:[0,1,1]
	v_pk_fma_f32 v[8:9], v[8:9], v[16:17], v[22:23] op_sel:[1,0,0]
	v_pk_fma_f32 v[8:9], v[10:11], v[64:65], v[8:9] op_sel_hi:[0,1,1]
	v_mov_b32_e32 v10, v11
	v_pk_fma_f32 v[8:9], v[10:11], v[18:19], v[8:9] op_sel_hi:[0,1,1]
	s_waitcnt lgkmcnt(0)
	v_pk_fma_f32 v[8:9], v[30:31], v[66:67], v[8:9] op_sel_hi:[0,1,1]
	v_pk_fma_f32 v[8:9], v[30:31], v[54:55], v[8:9] op_sel:[1,0,0]
	v_pk_fma_f32 v[8:9], v[32:33], v[40:41], v[8:9] op_sel_hi:[0,1,1]
	v_mov_b32_e32 v10, v33
	v_pk_fma_f32 v[42:43], v[10:11], v[56:57], v[8:9] op_sel_hi:[0,1,1]
	ds_read_b128 v[8:11], v80 offset:480
	ds_read_b128 v[22:25], v80 offset:496
	v_pk_fma_f32 v[4:5], v[12:13], v[4:5], v[20:21] op_sel:[1,0,0]
	v_pk_fma_f32 v[4:5], v[14:15], v[34:35], v[4:5] op_sel_hi:[0,1,1]
	v_mov_b32_e32 v12, v15
	v_pk_fma_f32 v[4:5], v[12:13], v[6:7], v[4:5] op_sel_hi:[0,1,1]
	s_waitcnt lgkmcnt(1)
	v_pk_fma_f32 v[4:5], v[8:9], v[62:63], v[4:5] op_sel_hi:[0,1,1]
	v_pk_fma_f32 v[4:5], v[8:9], v[16:17], v[4:5] op_sel:[1,0,0]
	v_pk_fma_f32 v[4:5], v[10:11], v[64:65], v[4:5] op_sel_hi:[0,1,1]
	v_mov_b32_e32 v6, v11
	v_pk_fma_f32 v[4:5], v[6:7], v[18:19], v[4:5] op_sel_hi:[0,1,1]
	s_waitcnt lgkmcnt(0)
	v_pk_fma_f32 v[4:5], v[22:23], v[66:67], v[4:5] op_sel_hi:[0,1,1]
	v_pk_fma_f32 v[4:5], v[22:23], v[54:55], v[4:5] op_sel:[1,0,0]
	v_pk_fma_f32 v[4:5], v[24:25], v[40:41], v[4:5] op_sel_hi:[0,1,1]
	v_mov_b32_e32 v6, v25
	v_pk_fma_f32 v[40:41], v[6:7], v[56:57], v[4:5] op_sel_hi:[0,1,1]
.LBB9_13:                               ;   in Loop: Header=BB9_9 Depth=2
	s_or_b64 exec, exec, s[16:17]
	s_andn2_b64 vcc, exec, s[14:15]
	s_barrier
	s_cbranch_vccnz .LBB9_8
; %bb.14:                               ;   in Loop: Header=BB9_9 Depth=2
	s_waitcnt vmcnt(0)
	ds_write_b128 v76, v[0:3]
	s_waitcnt lgkmcnt(0)
	s_barrier
	s_branch .LBB9_8
.LBB9_15:                               ;   in Loop: Header=BB9_7 Depth=1
	v_add_u32_e32 v4, s7, v77
	v_cmp_gt_f32_e32 vcc, v53, v83
	v_cndmask_b32_e32 v5, v82, v4, vcc
	v_cndmask_b32_e32 v6, v83, v53, vcc
	v_cmp_gt_f32_e32 vcc, v52, v84
	v_cndmask_b32_e32 v7, v85, v4, vcc
	v_cndmask_b32_e32 v8, v84, v52, vcc
	v_or_b32_e32 v9, 1, v4
	v_cmp_gt_f32_e32 vcc, v51, v6
	v_cndmask_b32_e32 v5, v5, v9, vcc
	v_cndmask_b32_e32 v6, v6, v51, vcc
	v_cmp_gt_f32_e32 vcc, v50, v8
	v_cndmask_b32_e32 v7, v7, v9, vcc
	v_cndmask_b32_e32 v8, v8, v50, vcc
	v_or_b32_e32 v9, 2, v4
	;; [unrolled: 7-line block ×3, first 2 shown]
	v_cmp_gt_f32_e32 vcc, v41, v6
	v_cndmask_b32_e32 v82, v5, v4, vcc
	v_cndmask_b32_e32 v83, v6, v41, vcc
	v_cmp_gt_f32_e32 vcc, v40, v8
	v_cndmask_b32_e32 v85, v7, v4, vcc
	v_cndmask_b32_e32 v84, v8, v40, vcc
	s_add_i32 s5, s7, 32
	v_add_co_u32_e32 v46, vcc, 0x4000, v46
	s_cmpk_gt_u32 s7, 0x3fdf
	v_addc_co_u32_e32 v47, vcc, 0, v47, vcc
	s_barrier
	s_cbranch_scc1 .LBB9_17
; %bb.16:                               ;   in Loop: Header=BB9_7 Depth=1
	s_mov_b32 s7, s5
	s_branch .LBB9_7
.LBB9_17:
	s_and_saveexec_b64 s[4:5], s[0:1]
	s_cbranch_execz .LBB9_19
; %bb.18:
	s_waitcnt vmcnt(0)
	v_or_b32_e32 v0, v74, v72
	v_lshlrev_b32_e32 v0, 2, v0
	ds_write2_b32 v0, v83, v84 offset1:16
	v_add_u32_e32 v0, 0x400, v0
	ds_write2_b32 v0, v82, v85 offset1:16
.LBB9_19:
	s_or_b64 exec, exec, s[4:5]
	v_cmp_eq_u32_e32 vcc, 0, v71
	s_waitcnt lgkmcnt(0)
	s_barrier
	s_and_saveexec_b64 s[0:1], vcc
	s_cbranch_execz .LBB9_21
; %bb.20:
	v_lshlrev_b32_e32 v4, 2, v70
	s_waitcnt vmcnt(0)
	ds_read2_b32 v[0:1], v4 offset1:32
	ds_read2_b32 v[2:3], v4 offset0:64 offset1:96
	v_add_u32_e32 v5, 32, v70
	v_add_u32_e32 v6, 64, v70
	s_waitcnt lgkmcnt(1)
	v_cmp_gt_f32_e32 vcc, v1, v0
	v_cndmask_b32_e32 v0, v0, v1, vcc
	v_cndmask_b32_e32 v1, v70, v5, vcc
	s_waitcnt lgkmcnt(0)
	v_cmp_gt_f32_e32 vcc, v2, v0
	v_cndmask_b32_e32 v2, v0, v2, vcc
	v_cndmask_b32_e32 v5, v1, v6, vcc
	ds_read2_b32 v[0:1], v4 offset0:128 offset1:160
	v_cmp_gt_f32_e32 vcc, v3, v2
	v_add_u32_e32 v6, 0x60, v70
	v_cndmask_b32_e32 v2, v2, v3, vcc
	v_cndmask_b32_e32 v3, v5, v6, vcc
	v_add_u32_e32 v5, 0x80, v70
	s_waitcnt lgkmcnt(0)
	v_cmp_gt_f32_e32 vcc, v0, v2
	v_cndmask_b32_e32 v0, v2, v0, vcc
	v_cndmask_b32_e32 v5, v3, v5, vcc
	ds_read2_b32 v[2:3], v4 offset0:192 offset1:224
	v_cmp_gt_f32_e32 vcc, v1, v0
	v_add_u32_e32 v6, 0xa0, v70
	v_cndmask_b32_e32 v0, v0, v1, vcc
	v_cndmask_b32_e32 v1, v5, v6, vcc
	s_waitcnt lgkmcnt(0)
	v_cmp_gt_f32_e32 vcc, v2, v0
	v_add_u32_e32 v4, 0xc0, v70
	v_cndmask_b32_e32 v0, v0, v2, vcc
	v_cndmask_b32_e32 v1, v1, v4, vcc
	v_add_u32_e32 v2, 0xe0, v70
	v_cmp_gt_f32_e32 vcc, v3, v0
	v_cndmask_b32_e32 v4, v0, v3, vcc
	v_cndmask_b32_e32 v0, v1, v2, vcc
	v_lshlrev_b32_e32 v0, 2, v0
	ds_read_b32 v5, v0 offset:1024
	v_lshl_add_u32 v0, s6, 5, v70
	v_ashrrev_i32_e32 v1, 31, v0
	v_lshlrev_b64 v[0:1], 2, v[0:1]
	v_mov_b32_e32 v3, s11
	v_add_co_u32_e32 v2, vcc, s10, v0
	v_addc_co_u32_e32 v3, vcc, v3, v1, vcc
	global_store_dword v[2:3], v4, off
	v_mov_b32_e32 v2, s3
	v_add_co_u32_e32 v0, vcc, s2, v0
	v_addc_co_u32_e32 v1, vcc, v2, v1, vcc
	s_waitcnt lgkmcnt(0)
	global_store_dword v[0:1], v5, off
.LBB9_21:
	s_endpgm
	.section	.rodata,"a",@progbits
	.p2align	6, 0x0
	.amdhsa_kernel _Z7Match10PKfS0_PfPi
		.amdhsa_group_segment_fixed_size 20480
		.amdhsa_private_segment_fixed_size 0
		.amdhsa_kernarg_size 32
		.amdhsa_user_sgpr_count 6
		.amdhsa_user_sgpr_private_segment_buffer 1
		.amdhsa_user_sgpr_dispatch_ptr 0
		.amdhsa_user_sgpr_queue_ptr 0
		.amdhsa_user_sgpr_kernarg_segment_ptr 1
		.amdhsa_user_sgpr_dispatch_id 0
		.amdhsa_user_sgpr_flat_scratch_init 0
		.amdhsa_user_sgpr_kernarg_preload_length 0
		.amdhsa_user_sgpr_kernarg_preload_offset 0
		.amdhsa_user_sgpr_private_segment_size 0
		.amdhsa_uses_dynamic_stack 0
		.amdhsa_system_sgpr_private_segment_wavefront_offset 0
		.amdhsa_system_sgpr_workgroup_id_x 1
		.amdhsa_system_sgpr_workgroup_id_y 0
		.amdhsa_system_sgpr_workgroup_id_z 0
		.amdhsa_system_sgpr_workgroup_info 0
		.amdhsa_system_vgpr_workitem_id 1
		.amdhsa_next_free_vgpr 96
		.amdhsa_next_free_sgpr 18
		.amdhsa_accum_offset 96
		.amdhsa_reserve_vcc 1
		.amdhsa_reserve_flat_scratch 0
		.amdhsa_float_round_mode_32 0
		.amdhsa_float_round_mode_16_64 0
		.amdhsa_float_denorm_mode_32 3
		.amdhsa_float_denorm_mode_16_64 3
		.amdhsa_dx10_clamp 1
		.amdhsa_ieee_mode 1
		.amdhsa_fp16_overflow 0
		.amdhsa_tg_split 0
		.amdhsa_exception_fp_ieee_invalid_op 0
		.amdhsa_exception_fp_denorm_src 0
		.amdhsa_exception_fp_ieee_div_zero 0
		.amdhsa_exception_fp_ieee_overflow 0
		.amdhsa_exception_fp_ieee_underflow 0
		.amdhsa_exception_fp_ieee_inexact 0
		.amdhsa_exception_int_div_zero 0
	.end_amdhsa_kernel
	.text
.Lfunc_end9:
	.size	_Z7Match10PKfS0_PfPi, .Lfunc_end9-_Z7Match10PKfS0_PfPi
                                        ; -- End function
	.section	.AMDGPU.csdata,"",@progbits
; Kernel info:
; codeLenInByte = 3484
; NumSgprs: 22
; NumVgprs: 96
; NumAgprs: 0
; TotalNumVgprs: 96
; ScratchSize: 0
; MemoryBound: 0
; FloatMode: 240
; IeeeMode: 1
; LDSByteSize: 20480 bytes/workgroup (compile time only)
; SGPRBlocks: 2
; VGPRBlocks: 11
; NumSGPRsForWavesPerEU: 22
; NumVGPRsForWavesPerEU: 96
; AccumOffset: 96
; Occupancy: 5
; WaveLimiterHint : 0
; COMPUTE_PGM_RSRC2:SCRATCH_EN: 0
; COMPUTE_PGM_RSRC2:USER_SGPR: 6
; COMPUTE_PGM_RSRC2:TRAP_HANDLER: 0
; COMPUTE_PGM_RSRC2:TGID_X_EN: 1
; COMPUTE_PGM_RSRC2:TGID_Y_EN: 0
; COMPUTE_PGM_RSRC2:TGID_Z_EN: 0
; COMPUTE_PGM_RSRC2:TIDIG_COMP_CNT: 1
; COMPUTE_PGM_RSRC3_GFX90A:ACCUM_OFFSET: 23
; COMPUTE_PGM_RSRC3_GFX90A:TG_SPLIT: 0
	.text
	.p2alignl 6, 3212836864
	.fill 256, 4, 3212836864
	.type	__hip_cuid_95964c75f8b1ddb8,@object ; @__hip_cuid_95964c75f8b1ddb8
	.section	.bss,"aw",@nobits
	.globl	__hip_cuid_95964c75f8b1ddb8
__hip_cuid_95964c75f8b1ddb8:
	.byte	0                               ; 0x0
	.size	__hip_cuid_95964c75f8b1ddb8, 1

	.ident	"AMD clang version 19.0.0git (https://github.com/RadeonOpenCompute/llvm-project roc-6.4.0 25133 c7fe45cf4b819c5991fe208aaa96edf142730f1d)"
	.section	".note.GNU-stack","",@progbits
	.addrsig
	.addrsig_sym __hip_cuid_95964c75f8b1ddb8
	.amdgpu_metadata
---
amdhsa.kernels:
  - .agpr_count:     0
    .args:
      - .actual_access:  read_only
        .address_space:  global
        .offset:         0
        .size:           8
        .value_kind:     global_buffer
      - .actual_access:  read_only
        .address_space:  global
        .offset:         8
        .size:           8
        .value_kind:     global_buffer
      - .actual_access:  write_only
        .address_space:  global
        .offset:         16
        .size:           8
        .value_kind:     global_buffer
      - .actual_access:  write_only
        .address_space:  global
        .offset:         24
        .size:           8
        .value_kind:     global_buffer
    .group_segment_fixed_size: 0
    .kernarg_segment_align: 8
    .kernarg_segment_size: 32
    .language:       OpenCL C
    .language_version:
      - 2
      - 0
    .max_flat_workgroup_size: 1024
    .name:           _Z6Match1PKfS0_PfPi
    .private_segment_fixed_size: 0
    .sgpr_count:     28
    .sgpr_spill_count: 0
    .symbol:         _Z6Match1PKfS0_PfPi.kd
    .uniform_work_group_size: 1
    .uses_dynamic_stack: false
    .vgpr_count:     16
    .vgpr_spill_count: 0
    .wavefront_size: 64
  - .agpr_count:     0
    .args:
      - .actual_access:  read_only
        .address_space:  global
        .offset:         0
        .size:           8
        .value_kind:     global_buffer
      - .actual_access:  read_only
        .address_space:  global
        .offset:         8
        .size:           8
        .value_kind:     global_buffer
      - .actual_access:  write_only
        .address_space:  global
        .offset:         16
        .size:           8
        .value_kind:     global_buffer
      - .actual_access:  write_only
        .address_space:  global
        .offset:         24
        .size:           8
        .value_kind:     global_buffer
    .group_segment_fixed_size: 17408
    .kernarg_segment_align: 8
    .kernarg_segment_size: 32
    .language:       OpenCL C
    .language_version:
      - 2
      - 0
    .max_flat_workgroup_size: 1024
    .name:           _Z6Match2PKfS0_PfPi
    .private_segment_fixed_size: 0
    .sgpr_count:     33
    .sgpr_spill_count: 0
    .symbol:         _Z6Match2PKfS0_PfPi.kd
    .uniform_work_group_size: 1
    .uses_dynamic_stack: false
    .vgpr_count:     46
    .vgpr_spill_count: 0
    .wavefront_size: 64
  - .agpr_count:     0
    .args:
      - .actual_access:  read_only
        .address_space:  global
        .offset:         0
        .size:           8
        .value_kind:     global_buffer
      - .actual_access:  read_only
        .address_space:  global
        .offset:         8
        .size:           8
        .value_kind:     global_buffer
      - .actual_access:  write_only
        .address_space:  global
        .offset:         16
        .size:           8
        .value_kind:     global_buffer
      - .actual_access:  write_only
        .address_space:  global
        .offset:         24
        .size:           8
        .value_kind:     global_buffer
    .group_segment_fixed_size: 17472
    .kernarg_segment_align: 8
    .kernarg_segment_size: 32
    .language:       OpenCL C
    .language_version:
      - 2
      - 0
    .max_flat_workgroup_size: 1024
    .name:           _Z6Match3PKfS0_PfPi
    .private_segment_fixed_size: 0
    .sgpr_count:     33
    .sgpr_spill_count: 0
    .symbol:         _Z6Match3PKfS0_PfPi.kd
    .uniform_work_group_size: 1
    .uses_dynamic_stack: false
    .vgpr_count:     44
    .vgpr_spill_count: 0
    .wavefront_size: 64
  - .agpr_count:     0
    .args:
      - .actual_access:  read_only
        .address_space:  global
        .offset:         0
        .size:           8
        .value_kind:     global_buffer
      - .actual_access:  read_only
        .address_space:  global
        .offset:         8
        .size:           8
        .value_kind:     global_buffer
      - .actual_access:  write_only
        .address_space:  global
        .offset:         16
        .size:           8
        .value_kind:     global_buffer
      - .actual_access:  write_only
        .address_space:  global
        .offset:         24
        .size:           8
        .value_kind:     global_buffer
    .group_segment_fixed_size: 17664
    .kernarg_segment_align: 8
    .kernarg_segment_size: 32
    .language:       OpenCL C
    .language_version:
      - 2
      - 0
    .max_flat_workgroup_size: 1024
    .name:           _Z6Match4PKfS0_PfPi
    .private_segment_fixed_size: 0
    .sgpr_count:     20
    .sgpr_spill_count: 0
    .symbol:         _Z6Match4PKfS0_PfPi.kd
    .uniform_work_group_size: 1
    .uses_dynamic_stack: false
    .vgpr_count:     46
    .vgpr_spill_count: 0
    .wavefront_size: 64
  - .agpr_count:     0
    .args:
      - .actual_access:  read_only
        .address_space:  global
        .offset:         0
        .size:           8
        .value_kind:     global_buffer
      - .actual_access:  read_only
        .address_space:  global
        .offset:         8
        .size:           8
        .value_kind:     global_buffer
      - .actual_access:  write_only
        .address_space:  global
        .offset:         16
        .size:           8
        .value_kind:     global_buffer
      - .actual_access:  write_only
        .address_space:  global
        .offset:         24
        .size:           8
        .value_kind:     global_buffer
    .group_segment_fixed_size: 17664
    .kernarg_segment_align: 8
    .kernarg_segment_size: 32
    .language:       OpenCL C
    .language_version:
      - 2
      - 0
    .max_flat_workgroup_size: 1024
    .name:           _Z6Match5PKfS0_PfPi
    .private_segment_fixed_size: 0
    .sgpr_count:     22
    .sgpr_spill_count: 0
    .symbol:         _Z6Match5PKfS0_PfPi.kd
    .uniform_work_group_size: 1
    .uses_dynamic_stack: false
    .vgpr_count:     58
    .vgpr_spill_count: 0
    .wavefront_size: 64
  - .agpr_count:     0
    .args:
      - .actual_access:  read_only
        .address_space:  global
        .offset:         0
        .size:           8
        .value_kind:     global_buffer
      - .actual_access:  read_only
        .address_space:  global
        .offset:         8
        .size:           8
        .value_kind:     global_buffer
      - .actual_access:  write_only
        .address_space:  global
        .offset:         16
        .size:           8
        .value_kind:     global_buffer
      - .actual_access:  write_only
        .address_space:  global
        .offset:         24
        .size:           8
        .value_kind:     global_buffer
    .group_segment_fixed_size: 16640
    .kernarg_segment_align: 8
    .kernarg_segment_size: 32
    .language:       OpenCL C
    .language_version:
      - 2
      - 0
    .max_flat_workgroup_size: 1024
    .name:           _Z6Match6PKfS0_PfPi
    .private_segment_fixed_size: 0
    .sgpr_count:     20
    .sgpr_spill_count: 0
    .symbol:         _Z6Match6PKfS0_PfPi.kd
    .uniform_work_group_size: 1
    .uses_dynamic_stack: false
    .vgpr_count:     58
    .vgpr_spill_count: 0
    .wavefront_size: 64
  - .agpr_count:     0
    .args:
      - .actual_access:  read_only
        .address_space:  global
        .offset:         0
        .size:           8
        .value_kind:     global_buffer
      - .actual_access:  read_only
        .address_space:  global
        .offset:         8
        .size:           8
        .value_kind:     global_buffer
      - .actual_access:  write_only
        .address_space:  global
        .offset:         16
        .size:           8
        .value_kind:     global_buffer
      - .actual_access:  write_only
        .address_space:  global
        .offset:         24
        .size:           8
        .value_kind:     global_buffer
    .group_segment_fixed_size: 32768
    .kernarg_segment_align: 8
    .kernarg_segment_size: 32
    .language:       OpenCL C
    .language_version:
      - 2
      - 0
    .max_flat_workgroup_size: 1024
    .name:           _Z6Match7PKfS0_PfPi
    .private_segment_fixed_size: 0
    .sgpr_count:     20
    .sgpr_spill_count: 0
    .symbol:         _Z6Match7PKfS0_PfPi.kd
    .uniform_work_group_size: 1
    .uses_dynamic_stack: false
    .vgpr_count:     58
    .vgpr_spill_count: 0
    .wavefront_size: 64
  - .agpr_count:     0
    .args:
      - .actual_access:  read_only
        .address_space:  global
        .offset:         0
        .size:           8
        .value_kind:     global_buffer
      - .actual_access:  read_only
        .address_space:  global
        .offset:         8
        .size:           8
        .value_kind:     global_buffer
      - .actual_access:  write_only
        .address_space:  global
        .offset:         16
        .size:           8
        .value_kind:     global_buffer
      - .actual_access:  write_only
        .address_space:  global
        .offset:         24
        .size:           8
        .value_kind:     global_buffer
    .group_segment_fixed_size: 32768
    .kernarg_segment_align: 8
    .kernarg_segment_size: 32
    .language:       OpenCL C
    .language_version:
      - 2
      - 0
    .max_flat_workgroup_size: 1024
    .name:           _Z6Match8PKfS0_PfPi
    .private_segment_fixed_size: 0
    .sgpr_count:     20
    .sgpr_spill_count: 0
    .symbol:         _Z6Match8PKfS0_PfPi.kd
    .uniform_work_group_size: 1
    .uses_dynamic_stack: false
    .vgpr_count:     60
    .vgpr_spill_count: 0
    .wavefront_size: 64
  - .agpr_count:     0
    .args:
      - .actual_access:  read_only
        .address_space:  global
        .offset:         0
        .size:           8
        .value_kind:     global_buffer
      - .actual_access:  read_only
        .address_space:  global
        .offset:         8
        .size:           8
        .value_kind:     global_buffer
      - .actual_access:  write_only
        .address_space:  global
        .offset:         16
        .size:           8
        .value_kind:     global_buffer
      - .actual_access:  write_only
        .address_space:  global
        .offset:         24
        .size:           8
        .value_kind:     global_buffer
    .group_segment_fixed_size: 32768
    .kernarg_segment_align: 8
    .kernarg_segment_size: 32
    .language:       OpenCL C
    .language_version:
      - 2
      - 0
    .max_flat_workgroup_size: 1024
    .name:           _Z6Match9PKfS0_PfPi
    .private_segment_fixed_size: 0
    .sgpr_count:     31
    .sgpr_spill_count: 0
    .symbol:         _Z6Match9PKfS0_PfPi.kd
    .uniform_work_group_size: 1
    .uses_dynamic_stack: false
    .vgpr_count:     61
    .vgpr_spill_count: 0
    .wavefront_size: 64
  - .agpr_count:     0
    .args:
      - .actual_access:  read_only
        .address_space:  global
        .offset:         0
        .size:           8
        .value_kind:     global_buffer
      - .actual_access:  read_only
        .address_space:  global
        .offset:         8
        .size:           8
        .value_kind:     global_buffer
      - .actual_access:  write_only
        .address_space:  global
        .offset:         16
        .size:           8
        .value_kind:     global_buffer
      - .actual_access:  write_only
        .address_space:  global
        .offset:         24
        .size:           8
        .value_kind:     global_buffer
    .group_segment_fixed_size: 20480
    .kernarg_segment_align: 8
    .kernarg_segment_size: 32
    .language:       OpenCL C
    .language_version:
      - 2
      - 0
    .max_flat_workgroup_size: 1024
    .name:           _Z7Match10PKfS0_PfPi
    .private_segment_fixed_size: 0
    .sgpr_count:     22
    .sgpr_spill_count: 0
    .symbol:         _Z7Match10PKfS0_PfPi.kd
    .uniform_work_group_size: 1
    .uses_dynamic_stack: false
    .vgpr_count:     96
    .vgpr_spill_count: 0
    .wavefront_size: 64
amdhsa.target:   amdgcn-amd-amdhsa--gfx90a
amdhsa.version:
  - 1
  - 2
...

	.end_amdgpu_metadata
